;; amdgpu-corpus repo=ROCm/rocFFT kind=compiled arch=gfx950 opt=O3
	.text
	.amdgcn_target "amdgcn-amd-amdhsa--gfx950"
	.amdhsa_code_object_version 6
	.protected	bluestein_single_back_len286_dim1_sp_op_CI_CI ; -- Begin function bluestein_single_back_len286_dim1_sp_op_CI_CI
	.globl	bluestein_single_back_len286_dim1_sp_op_CI_CI
	.p2align	8
	.type	bluestein_single_back_len286_dim1_sp_op_CI_CI,@function
bluestein_single_back_len286_dim1_sp_op_CI_CI: ; @bluestein_single_back_len286_dim1_sp_op_CI_CI
; %bb.0:
	s_load_dwordx4 s[8:11], s[0:1], 0x28
	v_mul_u32_u24_e32 v1, 0x9d9, v0
	v_lshrrev_b32_e32 v1, 16, v1
	v_mov_b32_e32 v47, 0
	v_lshl_add_u32 v48, s2, 1, v1
	v_mov_b32_e32 v49, v47
	s_waitcnt lgkmcnt(0)
	v_cmp_gt_u64_e32 vcc, s[8:9], v[48:49]
	s_and_saveexec_b64 s[2:3], vcc
	s_cbranch_execz .LBB0_23
; %bb.1:
	s_load_dwordx2 s[8:9], s[0:1], 0x0
	s_load_dwordx2 s[12:13], s[0:1], 0x38
	v_mul_lo_u16_e32 v2, 26, v1
	v_sub_u16_e32 v46, v0, v2
	v_and_b32_e32 v0, 1, v1
	v_mov_b32_e32 v1, 0x11e
	v_cmp_eq_u32_e32 vcc, 1, v0
	v_lshlrev_b32_e32 v49, 3, v46
	s_nop 0
	v_cndmask_b32_e32 v130, 0, v1, vcc
	v_cmp_gt_u16_e32 vcc, 22, v46
	v_lshlrev_b32_e32 v131, 3, v130
	s_and_saveexec_b64 s[2:3], vcc
	s_cbranch_execz .LBB0_3
; %bb.2:
	s_load_dwordx2 s[4:5], s[0:1], 0x18
	v_mov_b32_e32 v0, s10
	v_mov_b32_e32 v1, s11
	;; [unrolled: 1-line block ×3, first 2 shown]
	v_lshl_add_u32 v58, v46, 3, v131
	s_waitcnt lgkmcnt(0)
	s_load_dwordx4 s[4:7], s[4:5], 0x0
	v_add_u32_e32 v59, v131, v49
	s_waitcnt lgkmcnt(0)
	v_mad_u64_u32 v[2:3], s[10:11], s6, v48, 0
	v_mad_u64_u32 v[4:5], s[10:11], s4, v46, 0
	v_mov_b32_e32 v6, v3
	v_mov_b32_e32 v8, v5
	v_mad_u64_u32 v[6:7], s[6:7], s7, v48, v[6:7]
	v_mov_b32_e32 v3, v6
	v_mad_u64_u32 v[6:7], s[6:7], s5, v46, v[8:9]
	v_mov_b32_e32 v5, v6
	v_lshl_add_u64 v[0:1], v[2:3], 3, v[0:1]
	v_lshl_add_u64 v[0:1], v[4:5], 3, v[0:1]
	global_load_dwordx2 v[2:3], v[0:1], off
	v_mad_u64_u32 v[0:1], s[6:7], s4, v54, v[0:1]
	s_mul_i32 s10, s5, 0xb0
	v_add_u32_e32 v1, s10, v1
	global_load_dwordx2 v[4:5], v[0:1], off
	v_mad_u64_u32 v[0:1], s[6:7], s4, v54, v[0:1]
	v_add_u32_e32 v1, s10, v1
	v_mad_u64_u32 v[8:9], s[6:7], s4, v54, v[0:1]
	v_add_u32_e32 v9, s10, v9
	global_load_dwordx2 v[6:7], v49, s[8:9]
	global_load_dwordx2 v[10:11], v49, s[8:9] offset:176
	global_load_dwordx2 v[12:13], v49, s[8:9] offset:352
	;; [unrolled: 1-line block ×3, first 2 shown]
	global_load_dwordx2 v[16:17], v[0:1], off
	v_mad_u64_u32 v[0:1], s[6:7], s4, v54, v[8:9]
	v_add_u32_e32 v1, s10, v1
	global_load_dwordx2 v[18:19], v[8:9], off
	global_load_dwordx2 v[20:21], v[0:1], off
	v_mad_u64_u32 v[0:1], s[6:7], s4, v54, v[0:1]
	v_add_u32_e32 v1, s10, v1
	global_load_dwordx2 v[8:9], v[0:1], off
	global_load_dwordx2 v[22:23], v49, s[8:9] offset:704
	v_mad_u64_u32 v[0:1], s[6:7], s4, v54, v[0:1]
	v_add_u32_e32 v1, s10, v1
	global_load_dwordx2 v[24:25], v[0:1], off
	global_load_dwordx2 v[26:27], v49, s[8:9] offset:880
	v_mad_u64_u32 v[0:1], s[6:7], s4, v54, v[0:1]
	v_add_u32_e32 v1, s10, v1
	global_load_dwordx2 v[28:29], v49, s[8:9] offset:1056
	global_load_dwordx2 v[30:31], v[0:1], off
	global_load_dwordx2 v[32:33], v49, s[8:9] offset:1232
	v_mad_u64_u32 v[0:1], s[6:7], s4, v54, v[0:1]
	v_add_u32_e32 v1, s10, v1
	global_load_dwordx2 v[34:35], v[0:1], off
	v_mad_u64_u32 v[0:1], s[6:7], s4, v54, v[0:1]
	v_add_u32_e32 v1, s10, v1
	global_load_dwordx2 v[38:39], v[0:1], off
	v_mad_u64_u32 v[0:1], s[6:7], s4, v54, v[0:1]
	global_load_dwordx2 v[36:37], v49, s[8:9] offset:1408
	global_load_dwordx2 v[40:41], v49, s[8:9] offset:1584
	v_add_u32_e32 v1, s10, v1
	global_load_dwordx2 v[42:43], v[0:1], off
	global_load_dwordx2 v[44:45], v49, s[8:9] offset:1760
	v_mad_u64_u32 v[0:1], s[6:7], s4, v54, v[0:1]
	v_add_u32_e32 v1, s10, v1
	global_load_dwordx2 v[50:51], v[0:1], off
	global_load_dwordx2 v[52:53], v49, s[8:9] offset:1936
	v_mad_u64_u32 v[0:1], s[4:5], s4, v54, v[0:1]
	v_add_u32_e32 v1, s10, v1
	global_load_dwordx2 v[54:55], v49, s[8:9] offset:2112
	global_load_dwordx2 v[56:57], v[0:1], off
	s_waitcnt vmcnt(23)
	v_mul_f32_e32 v1, v2, v7
	v_mul_f32_e32 v0, v3, v7
	v_fma_f32 v1, v3, v6, -v1
	v_fmac_f32_e32 v0, v2, v6
	ds_write_b64 v58, v[0:1]
	s_waitcnt vmcnt(22)
	v_mul_f32_e32 v0, v5, v11
	v_mul_f32_e32 v1, v4, v11
	s_waitcnt vmcnt(19)
	v_mul_f32_e32 v2, v17, v13
	v_mul_f32_e32 v3, v16, v13
	v_fmac_f32_e32 v0, v4, v10
	v_fma_f32 v1, v5, v10, -v1
	v_fmac_f32_e32 v2, v16, v12
	v_fma_f32 v3, v17, v12, -v3
	ds_write2_b64 v59, v[0:1], v[2:3] offset0:22 offset1:44
	s_waitcnt vmcnt(18)
	v_mul_f32_e32 v0, v19, v15
	v_mul_f32_e32 v1, v18, v15
	s_waitcnt vmcnt(15)
	v_mul_f32_e32 v2, v21, v23
	v_mul_f32_e32 v3, v20, v23
	v_fmac_f32_e32 v0, v18, v14
	v_fma_f32 v1, v19, v14, -v1
	v_fmac_f32_e32 v2, v20, v22
	v_fma_f32 v3, v21, v22, -v3
	ds_write2_b64 v59, v[0:1], v[2:3] offset0:66 offset1:88
	;; [unrolled: 11-line block ×5, first 2 shown]
	s_waitcnt vmcnt(2)
	v_mul_f32_e32 v0, v51, v53
	v_mul_f32_e32 v1, v50, v53
	s_waitcnt vmcnt(0)
	v_mul_f32_e32 v2, v57, v55
	v_mul_f32_e32 v3, v56, v55
	v_fmac_f32_e32 v0, v50, v52
	v_fma_f32 v1, v51, v52, -v1
	v_fmac_f32_e32 v2, v56, v54
	v_fma_f32 v3, v57, v54, -v3
	v_add_u32_e32 v4, 0x400, v59
	ds_write2_b64 v4, v[0:1], v[2:3] offset0:114 offset1:136
.LBB0_3:
	s_or_b64 exec, exec, s[2:3]
	s_load_dwordx2 s[2:3], s[0:1], 0x20
	s_load_dwordx2 s[10:11], s[0:1], 0x8
	v_mov_b64_e32 v[0:1], 0
	s_waitcnt lgkmcnt(0)
	; wave barrier
	s_waitcnt lgkmcnt(0)
                                        ; implicit-def: $vgpr6
                                        ; implicit-def: $vgpr12
                                        ; implicit-def: $vgpr10
                                        ; implicit-def: $vgpr24
                                        ; implicit-def: $vgpr18
                                        ; implicit-def: $vgpr56
	s_and_saveexec_b64 s[0:1], vcc
	s_cbranch_execz .LBB0_5
; %bb.4:
	v_lshlrev_b32_e32 v0, 3, v46
	v_lshl_add_u32 v20, v130, 3, v0
	ds_read2_b64 v[0:3], v20 offset1:22
	ds_read2_b64 v[16:19], v20 offset0:44 offset1:66
	ds_read2_b64 v[8:11], v20 offset0:88 offset1:110
	;; [unrolled: 1-line block ×5, first 2 shown]
	ds_read_b64 v[56:57], v20 offset:2112
.LBB0_5:
	s_or_b64 exec, exec, s[0:1]
	s_waitcnt lgkmcnt(0)
	v_pk_add_f32 v[40:41], v[2:3], v[56:57] neg_lo:[0,1] neg_hi:[0,1]
	s_mov_b32 s0, 0xbeedf032
	v_pk_add_f32 v[38:39], v[56:57], v[2:3]
	v_pk_add_f32 v[36:37], v[16:17], v[26:27] neg_lo:[0,1] neg_hi:[0,1]
	s_mov_b32 s14, 0x3f62ad3f
	v_pk_mul_f32 v[22:23], v[40:41], s[0:1] op_sel_hi:[1,0]
	s_mov_b32 s24, 0xbf52af12
	v_pk_add_f32 v[34:35], v[26:27], v[16:17]
	v_pk_fma_f32 v[58:59], v[38:39], s[14:15], v[22:23] op_sel:[0,0,1] op_sel_hi:[1,0,0]
	v_pk_fma_f32 v[60:61], v[38:39], s[14:15], v[22:23] op_sel:[0,0,1] op_sel_hi:[1,0,0] neg_lo:[0,0,1] neg_hi:[0,0,1]
	s_mov_b32 s6, 0x3f116cb1
	v_pk_mul_f32 v[42:43], v[36:37], s[24:25] op_sel_hi:[1,0]
	v_mov_b32_e32 v22, v58
	v_mov_b32_e32 v23, v61
	v_pk_fma_f32 v[62:63], v[34:35], s[6:7], v[42:43] op_sel:[0,0,1] op_sel_hi:[1,0,0]
	v_pk_fma_f32 v[64:65], v[34:35], s[6:7], v[42:43] op_sel:[0,0,1] op_sel_hi:[1,0,0] neg_lo:[0,0,1] neg_hi:[0,0,1]
	v_pk_add_f32 v[32:33], v[18:19], v[24:25] neg_lo:[0,1] neg_hi:[0,1]
	v_pk_add_f32 v[22:23], v[22:23], v[0:1]
	v_mov_b32_e32 v42, v62
	v_mov_b32_e32 v43, v65
	s_mov_b32 s34, 0xbf7e222b
	v_pk_add_f32 v[30:31], v[24:25], v[18:19]
	v_pk_add_f32 v[22:23], v[42:43], v[22:23]
	s_mov_b32 s4, 0x3df6dbef
	v_pk_mul_f32 v[42:43], v[32:33], s[34:35] op_sel_hi:[1,0]
	v_pk_add_f32 v[28:29], v[8:9], v[14:15] neg_lo:[0,1] neg_hi:[0,1]
	v_pk_fma_f32 v[66:67], v[30:31], s[4:5], v[42:43] op_sel:[0,0,1] op_sel_hi:[1,0,0]
	v_pk_fma_f32 v[68:69], v[30:31], s[4:5], v[42:43] op_sel:[0,0,1] op_sel_hi:[1,0,0] neg_lo:[0,0,1] neg_hi:[0,0,1]
	v_mov_b32_e32 v42, v66
	v_mov_b32_e32 v43, v69
	s_mov_b32 s18, 0xbf6f5d39
	v_pk_add_f32 v[20:21], v[14:15], v[8:9]
	v_pk_add_f32 v[22:23], v[42:43], v[22:23]
	s_mov_b32 s16, 0xbeb58ec6
	v_pk_mul_f32 v[42:43], v[28:29], s[18:19] op_sel_hi:[1,0]
	s_mov_b32 s22, 0xbf29c268
	v_pk_fma_f32 v[70:71], v[20:21], s[16:17], v[42:43] op_sel:[0,0,1] op_sel_hi:[1,0,0]
	v_pk_fma_f32 v[72:73], v[20:21], s[16:17], v[42:43] op_sel:[0,0,1] op_sel_hi:[1,0,0] neg_lo:[0,0,1] neg_hi:[0,0,1]
	v_mov_b32_e32 v42, v70
	v_mov_b32_e32 v43, v73
	v_pk_add_f32 v[44:45], v[10:11], v[12:13] neg_lo:[0,1] neg_hi:[0,1]
	v_pk_add_f32 v[22:23], v[42:43], v[22:23]
	s_mov_b32 s20, 0xbf3f9e67
	v_pk_add_f32 v[42:43], v[12:13], v[10:11]
	v_pk_mul_f32 v[50:51], v[44:45], s[22:23] op_sel_hi:[1,0]
	s_mov_b32 s28, 0xbe750f2a
	v_pk_fma_f32 v[74:75], v[42:43], s[20:21], v[50:51] op_sel:[0,0,1] op_sel_hi:[1,0,0]
	v_pk_fma_f32 v[76:77], v[42:43], s[20:21], v[50:51] op_sel:[0,0,1] op_sel_hi:[1,0,0] neg_lo:[0,0,1] neg_hi:[0,0,1]
	v_mov_b32_e32 v50, v74
	v_mov_b32_e32 v51, v77
	v_pk_add_f32 v[54:55], v[4:5], v[6:7] neg_lo:[0,1] neg_hi:[0,1]
	v_pk_add_f32 v[22:23], v[50:51], v[22:23]
	s_mov_b32 s26, 0xbf788fa5
	v_pk_add_f32 v[52:53], v[6:7], v[4:5]
	v_pk_mul_f32 v[50:51], v[54:55], s[28:29] op_sel_hi:[1,0]
	v_pk_mul_f32 v[84:85], v[36:37], s[18:19] op_sel_hi:[1,0]
	v_pk_fma_f32 v[86:87], v[52:53], s[26:27], v[50:51] op_sel:[0,0,1] op_sel_hi:[1,0,0]
	v_pk_fma_f32 v[88:89], v[52:53], s[26:27], v[50:51] op_sel:[0,0,1] op_sel_hi:[1,0,0] neg_lo:[0,0,1] neg_hi:[0,0,1]
	v_mov_b32_e32 v50, v86
	v_mov_b32_e32 v51, v89
	v_pk_add_f32 v[50:51], v[50:51], v[22:23]
	v_pk_mul_f32 v[22:23], v[40:41], s[24:25] op_sel_hi:[1,0]
	v_pk_fma_f32 v[82:83], v[34:35], s[16:17], v[84:85] op_sel:[0,0,1] op_sel_hi:[1,0,0]
	v_pk_fma_f32 v[78:79], v[38:39], s[6:7], v[22:23] op_sel:[0,0,1] op_sel_hi:[1,0,0]
	v_pk_fma_f32 v[80:81], v[38:39], s[6:7], v[22:23] op_sel:[0,0,1] op_sel_hi:[1,0,0] neg_lo:[0,0,1] neg_hi:[0,0,1]
	v_mov_b32_e32 v22, v78
	v_mov_b32_e32 v23, v81
	v_pk_fma_f32 v[84:85], v[34:35], s[16:17], v[84:85] op_sel:[0,0,1] op_sel_hi:[1,0,0] neg_lo:[0,0,1] neg_hi:[0,0,1]
	v_mov_b32_e32 v90, v82
	v_mov_b32_e32 v91, v85
	v_pk_add_f32 v[22:23], v[22:23], v[0:1]
	v_pk_mul_f32 v[92:93], v[32:33], s[28:29] op_sel_hi:[1,0]
	v_pk_add_f32 v[22:23], v[90:91], v[22:23]
	v_pk_fma_f32 v[90:91], v[30:31], s[26:27], v[92:93] op_sel:[0,0,1] op_sel_hi:[1,0,0]
	v_pk_fma_f32 v[92:93], v[30:31], s[26:27], v[92:93] op_sel:[0,0,1] op_sel_hi:[1,0,0] neg_lo:[0,0,1] neg_hi:[0,0,1]
	s_mov_b32 s38, 0x3f29c268
	v_mov_b32_e32 v94, v90
	v_mov_b32_e32 v95, v93
	v_pk_mul_f32 v[96:97], v[28:29], s[38:39] op_sel_hi:[1,0]
	v_pk_add_f32 v[22:23], v[94:95], v[22:23]
	v_pk_fma_f32 v[94:95], v[20:21], s[20:21], v[96:97] op_sel:[0,0,1] op_sel_hi:[1,0,0]
	v_pk_fma_f32 v[96:97], v[20:21], s[20:21], v[96:97] op_sel:[0,0,1] op_sel_hi:[1,0,0] neg_lo:[0,0,1] neg_hi:[0,0,1]
	s_mov_b32 s30, 0x3f7e222b
	v_mov_b32_e32 v98, v94
	v_mov_b32_e32 v99, v97
	;; [unrolled: 7-line block ×3, first 2 shown]
	v_pk_mul_f32 v[104:105], v[54:55], s[36:37] op_sel_hi:[1,0]
	v_pk_add_f32 v[22:23], v[102:103], v[22:23]
	v_pk_fma_f32 v[102:103], v[52:53], s[14:15], v[104:105] op_sel:[0,0,1] op_sel_hi:[1,0,0]
	v_pk_fma_f32 v[104:105], v[52:53], s[14:15], v[104:105] op_sel:[0,0,1] op_sel_hi:[1,0,0] neg_lo:[0,0,1] neg_hi:[0,0,1]
	v_mov_b32_e32 v106, v102
	v_mov_b32_e32 v107, v105
	v_pk_add_f32 v[22:23], v[106:107], v[22:23]
	s_waitcnt lgkmcnt(0)
	; wave barrier
	s_and_saveexec_b64 s[0:1], vcc
	s_cbranch_execz .LBB0_7
; %bb.6:
	v_pk_add_f32 v[2:3], v[2:3], v[0:1]
	v_mov_b32_e32 v61, v59
	v_pk_add_f32 v[2:3], v[16:17], v[2:3]
	v_mov_b32_e32 v65, v63
	;; [unrolled: 2-line block ×5, first 2 shown]
	v_pk_add_f32 v[2:3], v[4:5], v[2:3]
	v_mul_lo_u16_e32 v4, 13, v46
	v_pk_add_f32 v[2:3], v[6:7], v[2:3]
	v_add_lshl_u32 v112, v130, v4, 3
	v_pk_add_f32 v[4:5], v[60:61], v[0:1]
	v_pk_add_f32 v[2:3], v[12:13], v[2:3]
	;; [unrolled: 1-line block ×9, first 2 shown]
	v_mov_b32_e32 v89, v87
	v_pk_add_f32 v[2:3], v[56:57], v[2:3]
	v_pk_add_f32 v[4:5], v[88:89], v[4:5]
	ds_write2_b64 v112, v[2:3], v[4:5] offset1:1
	v_pk_mul_f32 v[4:5], v[40:41], s[34:35] op_sel_hi:[1,0]
	v_pk_mul_f32 v[6:7], v[36:37], s[28:29] op_sel_hi:[1,0]
	v_pk_fma_f32 v[16:17], v[38:39], s[4:5], v[4:5] op_sel:[0,0,1] op_sel_hi:[1,0,0] neg_lo:[0,0,1] neg_hi:[0,0,1]
	v_pk_fma_f32 v[4:5], v[38:39], s[4:5], v[4:5] op_sel:[0,0,1] op_sel_hi:[1,0,0]
	s_mov_b32 s40, 0x3f6f5d39
	v_mov_b32_e32 v18, v16
	v_mov_b32_e32 v19, v5
	v_pk_fma_f32 v[24:25], v[34:35], s[26:27], v[6:7] op_sel:[0,0,1] op_sel_hi:[1,0,0] neg_lo:[0,0,1] neg_hi:[0,0,1]
	v_pk_fma_f32 v[6:7], v[34:35], s[26:27], v[6:7] op_sel:[0,0,1] op_sel_hi:[1,0,0]
	v_pk_mul_f32 v[8:9], v[32:33], s[40:41] op_sel_hi:[1,0]
	v_pk_add_f32 v[18:19], v[18:19], v[0:1]
	v_mov_b32_e32 v26, v24
	v_mov_b32_e32 v27, v7
	v_pk_add_f32 v[18:19], v[26:27], v[18:19]
	v_pk_fma_f32 v[26:27], v[30:31], s[16:17], v[8:9] op_sel:[0,0,1] op_sel_hi:[1,0,0] neg_lo:[0,0,1] neg_hi:[0,0,1]
	v_pk_fma_f32 v[8:9], v[30:31], s[16:17], v[8:9] op_sel:[0,0,1] op_sel_hi:[1,0,0]
	v_pk_mul_f32 v[10:11], v[28:29], s[36:37] op_sel_hi:[1,0]
	v_mov_b32_e32 v56, v26
	v_mov_b32_e32 v57, v9
	;; [unrolled: 1-line block ×3, first 2 shown]
	v_pk_add_f32 v[18:19], v[56:57], v[18:19]
	v_pk_fma_f32 v[56:57], v[20:21], s[14:15], v[10:11] op_sel:[0,0,1] op_sel_hi:[1,0,0] neg_lo:[0,0,1] neg_hi:[0,0,1]
	v_pk_fma_f32 v[10:11], v[20:21], s[14:15], v[10:11] op_sel:[0,0,1] op_sel_hi:[1,0,0]
	v_pk_add_f32 v[2:3], v[80:81], v[0:1]
	v_mov_b32_e32 v85, v83
	v_pk_mul_f32 v[12:13], v[44:45], s[24:25] op_sel_hi:[1,0]
	v_mov_b32_e32 v58, v56
	v_mov_b32_e32 v59, v11
	v_pk_add_f32 v[2:3], v[84:85], v[2:3]
	v_mov_b32_e32 v93, v91
	v_pk_add_f32 v[18:19], v[58:59], v[18:19]
	v_pk_fma_f32 v[58:59], v[42:43], s[6:7], v[12:13] op_sel:[0,0,1] op_sel_hi:[1,0,0] neg_lo:[0,0,1] neg_hi:[0,0,1]
	v_pk_fma_f32 v[12:13], v[42:43], s[6:7], v[12:13] op_sel:[0,0,1] op_sel_hi:[1,0,0]
	v_pk_add_f32 v[2:3], v[92:93], v[2:3]
	v_mov_b32_e32 v97, v95
	v_pk_mul_f32 v[14:15], v[54:55], s[22:23] op_sel_hi:[1,0]
	v_mov_b32_e32 v60, v58
	v_mov_b32_e32 v61, v13
	v_pk_add_f32 v[2:3], v[96:97], v[2:3]
	v_mov_b32_e32 v101, v99
	v_pk_add_f32 v[18:19], v[60:61], v[18:19]
	v_pk_fma_f32 v[60:61], v[52:53], s[20:21], v[14:15] op_sel:[0,0,1] op_sel_hi:[1,0,0] neg_lo:[0,0,1] neg_hi:[0,0,1]
	v_pk_fma_f32 v[14:15], v[52:53], s[20:21], v[14:15] op_sel:[0,0,1] op_sel_hi:[1,0,0]
	v_pk_add_f32 v[2:3], v[100:101], v[2:3]
	v_mov_b32_e32 v105, v103
	v_mov_b32_e32 v62, v60
	;; [unrolled: 1-line block ×3, first 2 shown]
	v_pk_add_f32 v[2:3], v[104:105], v[2:3]
	v_pk_add_f32 v[18:19], v[62:63], v[18:19]
	ds_write2_b64 v112, v[2:3], v[18:19] offset0:2 offset1:3
	v_pk_mul_f32 v[2:3], v[40:41], s[18:19] op_sel_hi:[1,0]
	v_pk_mul_f32 v[64:65], v[36:37], s[38:39] op_sel_hi:[1,0]
	v_pk_fma_f32 v[18:19], v[38:39], s[16:17], v[2:3] op_sel:[0,0,1] op_sel_hi:[1,0,0] neg_lo:[0,0,1] neg_hi:[0,0,1]
	v_pk_fma_f32 v[2:3], v[38:39], s[16:17], v[2:3] op_sel:[0,0,1] op_sel_hi:[1,0,0]
	v_mov_b32_e32 v62, v18
	v_mov_b32_e32 v63, v3
	v_pk_fma_f32 v[66:67], v[34:35], s[20:21], v[64:65] op_sel:[0,0,1] op_sel_hi:[1,0,0] neg_lo:[0,0,1] neg_hi:[0,0,1]
	v_pk_fma_f32 v[64:65], v[34:35], s[20:21], v[64:65] op_sel:[0,0,1] op_sel_hi:[1,0,0]
	v_pk_add_f32 v[62:63], v[62:63], v[0:1]
	v_mov_b32_e32 v68, v66
	v_mov_b32_e32 v69, v65
	v_pk_add_f32 v[62:63], v[68:69], v[62:63]
	v_pk_mul_f32 v[68:69], v[32:33], s[36:37] op_sel_hi:[1,0]
	s_mov_b32 s38, 0x3f52af12
	v_pk_fma_f32 v[70:71], v[30:31], s[14:15], v[68:69] op_sel:[0,0,1] op_sel_hi:[1,0,0] neg_lo:[0,0,1] neg_hi:[0,0,1]
	v_pk_fma_f32 v[68:69], v[30:31], s[14:15], v[68:69] op_sel:[0,0,1] op_sel_hi:[1,0,0]
	v_mov_b32_e32 v72, v70
	v_mov_b32_e32 v73, v69
	v_pk_add_f32 v[62:63], v[72:73], v[62:63]
	v_pk_mul_f32 v[72:73], v[28:29], s[34:35] op_sel_hi:[1,0]
	s_mov_b32 s34, 0x3e750f2a
	v_pk_fma_f32 v[74:75], v[20:21], s[4:5], v[72:73] op_sel:[0,0,1] op_sel_hi:[1,0,0] neg_lo:[0,0,1] neg_hi:[0,0,1]
	v_pk_fma_f32 v[72:73], v[20:21], s[4:5], v[72:73] op_sel:[0,0,1] op_sel_hi:[1,0,0]
	v_mov_b32_e32 v76, v74
	v_mov_b32_e32 v77, v73
	v_pk_add_f32 v[62:63], v[76:77], v[62:63]
	v_pk_mul_f32 v[76:77], v[44:45], s[34:35] op_sel_hi:[1,0]
	v_pk_mul_f32 v[90:91], v[36:37], s[30:31] op_sel_hi:[1,0]
	v_pk_fma_f32 v[78:79], v[42:43], s[26:27], v[76:77] op_sel:[0,0,1] op_sel_hi:[1,0,0] neg_lo:[0,0,1] neg_hi:[0,0,1]
	v_pk_fma_f32 v[76:77], v[42:43], s[26:27], v[76:77] op_sel:[0,0,1] op_sel_hi:[1,0,0]
	v_mov_b32_e32 v80, v78
	v_mov_b32_e32 v81, v77
	v_pk_add_f32 v[62:63], v[80:81], v[62:63]
	v_pk_mul_f32 v[80:81], v[54:55], s[38:39] op_sel_hi:[1,0]
	v_pk_fma_f32 v[92:93], v[34:35], s[4:5], v[90:91] op_sel:[0,0,1] op_sel_hi:[1,0,0] neg_lo:[0,0,1] neg_hi:[0,0,1]
	v_pk_fma_f32 v[82:83], v[52:53], s[6:7], v[80:81] op_sel:[0,0,1] op_sel_hi:[1,0,0] neg_lo:[0,0,1] neg_hi:[0,0,1]
	v_pk_fma_f32 v[80:81], v[52:53], s[6:7], v[80:81] op_sel:[0,0,1] op_sel_hi:[1,0,0]
	v_mov_b32_e32 v84, v82
	v_mov_b32_e32 v85, v81
	v_pk_add_f32 v[62:63], v[84:85], v[62:63]
	v_pk_mul_f32 v[84:85], v[40:41], s[22:23] op_sel_hi:[1,0]
	v_pk_fma_f32 v[90:91], v[34:35], s[4:5], v[90:91] op_sel:[0,0,1] op_sel_hi:[1,0,0]
	v_pk_fma_f32 v[86:87], v[38:39], s[20:21], v[84:85] op_sel:[0,0,1] op_sel_hi:[1,0,0] neg_lo:[0,0,1] neg_hi:[0,0,1]
	v_pk_fma_f32 v[84:85], v[38:39], s[20:21], v[84:85] op_sel:[0,0,1] op_sel_hi:[1,0,0]
	v_mov_b32_e32 v88, v86
	v_mov_b32_e32 v89, v85
	v_pk_add_f32 v[88:89], v[88:89], v[0:1]
	v_mov_b32_e32 v94, v92
	v_mov_b32_e32 v95, v91
	v_pk_add_f32 v[88:89], v[94:95], v[88:89]
	v_pk_mul_f32 v[94:95], v[32:33], s[24:25] op_sel_hi:[1,0]
	v_pk_mul_f32 v[40:41], v[40:41], s[28:29] op_sel_hi:[1,0]
	v_pk_fma_f32 v[96:97], v[30:31], s[6:7], v[94:95] op_sel:[0,0,1] op_sel_hi:[1,0,0] neg_lo:[0,0,1] neg_hi:[0,0,1]
	v_pk_fma_f32 v[94:95], v[30:31], s[6:7], v[94:95] op_sel:[0,0,1] op_sel_hi:[1,0,0]
	v_mov_b32_e32 v98, v96
	v_mov_b32_e32 v99, v95
	v_pk_add_f32 v[88:89], v[98:99], v[88:89]
	v_pk_mul_f32 v[98:99], v[28:29], s[34:35] op_sel_hi:[1,0]
	v_pk_mul_f32 v[36:37], v[36:37], s[36:37] op_sel_hi:[1,0]
	v_pk_fma_f32 v[100:101], v[20:21], s[26:27], v[98:99] op_sel:[0,0,1] op_sel_hi:[1,0,0] neg_lo:[0,0,1] neg_hi:[0,0,1]
	v_pk_fma_f32 v[98:99], v[20:21], s[26:27], v[98:99] op_sel:[0,0,1] op_sel_hi:[1,0,0]
	;; [unrolled: 7-line block ×4, first 2 shown]
	v_mov_b32_e32 v110, v108
	v_mov_b32_e32 v111, v107
	v_pk_add_f32 v[88:89], v[110:111], v[88:89]
	ds_write2_b64 v112, v[62:63], v[88:89] offset0:4 offset1:5
	v_pk_fma_f32 v[62:63], v[38:39], s[26:27], v[40:41] op_sel:[0,0,1] op_sel_hi:[1,0,0] neg_lo:[0,0,1] neg_hi:[0,0,1]
	v_pk_fma_f32 v[38:39], v[38:39], s[26:27], v[40:41] op_sel:[0,0,1] op_sel_hi:[1,0,0]
	v_pk_fma_f32 v[40:41], v[34:35], s[14:15], v[36:37] op_sel:[0,0,1] op_sel_hi:[1,0,0] neg_lo:[0,0,1] neg_hi:[0,0,1]
	v_pk_fma_f32 v[34:35], v[34:35], s[14:15], v[36:37] op_sel:[0,0,1] op_sel_hi:[1,0,0]
	v_mov_b32_e32 v36, v62
	v_mov_b32_e32 v37, v39
	v_pk_add_f32 v[36:37], v[36:37], v[0:1]
	v_mov_b32_e32 v88, v40
	v_mov_b32_e32 v89, v35
	v_pk_add_f32 v[36:37], v[88:89], v[36:37]
	v_pk_fma_f32 v[88:89], v[30:31], s[20:21], v[32:33] op_sel:[0,0,1] op_sel_hi:[1,0,0] neg_lo:[0,0,1] neg_hi:[0,0,1]
	v_pk_fma_f32 v[30:31], v[30:31], s[20:21], v[32:33] op_sel:[0,0,1] op_sel_hi:[1,0,0]
	v_mov_b32_e32 v32, v88
	v_mov_b32_e32 v33, v31
	v_pk_add_f32 v[32:33], v[32:33], v[36:37]
	v_pk_fma_f32 v[36:37], v[20:21], s[6:7], v[28:29] op_sel:[0,0,1] op_sel_hi:[1,0,0] neg_lo:[0,0,1] neg_hi:[0,0,1]
	v_pk_fma_f32 v[20:21], v[20:21], s[6:7], v[28:29] op_sel:[0,0,1] op_sel_hi:[1,0,0]
	v_mov_b32_e32 v28, v36
	v_mov_b32_e32 v29, v21
	v_pk_add_f32 v[28:29], v[28:29], v[32:33]
	v_pk_mul_f32 v[32:33], v[44:45], s[18:19] op_sel_hi:[1,0]
	v_mov_b32_e32 v39, v63
	v_pk_fma_f32 v[44:45], v[42:43], s[16:17], v[32:33] op_sel:[0,0,1] op_sel_hi:[1,0,0] neg_lo:[0,0,1] neg_hi:[0,0,1]
	v_pk_fma_f32 v[32:33], v[42:43], s[16:17], v[32:33] op_sel:[0,0,1] op_sel_hi:[1,0,0]
	v_mov_b32_e32 v35, v41
	v_pk_add_f32 v[38:39], v[38:39], v[0:1]
	v_mov_b32_e32 v42, v44
	v_mov_b32_e32 v43, v33
	v_pk_add_f32 v[34:35], v[34:35], v[38:39]
	v_mov_b32_e32 v31, v89
	v_pk_add_f32 v[28:29], v[42:43], v[28:29]
	v_pk_mul_f32 v[42:43], v[54:55], s[30:31] op_sel_hi:[1,0]
	v_pk_add_f32 v[30:31], v[30:31], v[34:35]
	v_mov_b32_e32 v21, v37
	v_pk_fma_f32 v[54:55], v[52:53], s[4:5], v[42:43] op_sel:[0,0,1] op_sel_hi:[1,0,0] neg_lo:[0,0,1] neg_hi:[0,0,1]
	v_pk_fma_f32 v[42:43], v[52:53], s[4:5], v[42:43] op_sel:[0,0,1] op_sel_hi:[1,0,0]
	v_pk_add_f32 v[20:21], v[20:21], v[30:31]
	v_mov_b32_e32 v33, v45
	v_mov_b32_e32 v52, v54
	;; [unrolled: 1-line block ×3, first 2 shown]
	v_pk_add_f32 v[20:21], v[32:33], v[20:21]
	v_mov_b32_e32 v43, v55
	v_pk_add_f32 v[28:29], v[52:53], v[28:29]
	v_pk_add_f32 v[20:21], v[42:43], v[20:21]
	v_mov_b32_e32 v85, v87
	v_mov_b32_e32 v3, v19
	;; [unrolled: 1-line block ×3, first 2 shown]
	ds_write2_b64 v112, v[28:29], v[20:21] offset0:6 offset1:7
	v_pk_add_f32 v[20:21], v[84:85], v[0:1]
	v_mov_b32_e32 v91, v93
	v_pk_add_f32 v[2:3], v[2:3], v[0:1]
	v_mov_b32_e32 v65, v67
	;; [unrolled: 2-line block ×15, first 2 shown]
	v_pk_add_f32 v[20:21], v[106:107], v[20:21]
	v_pk_add_f32 v[2:3], v[80:81], v[2:3]
	;; [unrolled: 1-line block ×3, first 2 shown]
	ds_write2_b64 v112, v[20:21], v[2:3] offset0:8 offset1:9
	ds_write2_b64 v112, v[0:1], v[22:23] offset0:10 offset1:11
	ds_write_b64 v112, v[50:51] offset:96
.LBB0_7:
	s_or_b64 exec, exec, s[0:1]
	v_lshl_add_u64 v[32:33], v[46:47], 0, -13
	v_cmp_gt_u16_e64 s[0:1], 13, v46
	s_load_dwordx4 s[4:7], s[2:3], 0x0
	s_waitcnt lgkmcnt(0)
	v_cndmask_b32_e64 v52, v32, v46, s[0:1]
	v_mul_hi_i32_i24_e32 v1, 10, v52
	v_mul_i32_i24_e32 v0, 10, v52
	v_lshl_add_u64 v[20:21], v[0:1], 3, s[10:11]
	; wave barrier
	global_load_dwordx4 v[0:3], v[20:21], off
	global_load_dwordx4 v[12:15], v[20:21], off offset:32
	global_load_dwordx4 v[16:19], v[20:21], off offset:16
	;; [unrolled: 1-line block ×4, first 2 shown]
	v_add_lshl_u32 v132, v130, v46, 3
	v_mov_b32_e32 v20, 0x8f
	ds_read2_b64 v[28:31], v132 offset0:52 offset1:78
	ds_read2_b64 v[34:37], v132 offset0:104 offset1:130
	ds_read2_b64 v[38:41], v132 offset0:156 offset1:182
	ds_read2_b64 v[24:27], v132 offset1:26
	v_cmp_lt_u16_e64 s[2:3], 12, v46
	s_mov_b32 s28, 0xbf0a6770
	s_mov_b32 s14, 0xbe903f40
	v_cndmask_b32_e64 v53, 0, v20, s[2:3]
	ds_read2_b64 v[42:45], v132 offset0:208 offset1:234
	ds_read_b64 v[20:21], v132 offset:2080
	v_add_u32_e32 v52, v52, v53
	v_add_lshl_u32 v133, v130, v52, 3
	s_mov_b32 s29, 0x3f575c64
	s_mov_b32 s16, 0xbf75a155
	;; [unrolled: 1-line block ×12, first 2 shown]
	s_waitcnt lgkmcnt(0)
	; wave barrier
	s_waitcnt lgkmcnt(0)
	s_mov_b32 s38, s29
	s_mov_b32 s40, 0x3f68dda4
	s_waitcnt vmcnt(4)
	v_mov_b32_e32 v52, v1
	v_pk_mul_f32 v[54:55], v[26:27], v[0:1] op_sel:[1,0] op_sel_hi:[0,1]
	s_waitcnt vmcnt(3)
	v_pk_mul_f32 v[56:57], v[36:37], v[12:13] op_sel:[0,1]
	v_mov_b32_e32 v58, v3
	s_waitcnt vmcnt(2)
	v_pk_mul_f32 v[60:61], v[30:31], v[16:17] op_sel:[0,1]
	v_mov_b32_e32 v62, v19
	;; [unrolled: 3-line block ×4, first 2 shown]
	v_mov_b32_e32 v54, v15
	v_pk_mul_f32 v[52:53], v[26:27], v[52:53] op_sel:[1,0] op_sel_hi:[0,1]
	v_mov_b32_e32 v72, v55
	v_pk_fma_f32 v[74:75], v[36:37], v[12:13], v[56:57] op_sel:[0,0,1] op_sel_hi:[1,1,0] neg_lo:[0,0,1] neg_hi:[0,0,1]
	v_pk_fma_f32 v[36:37], v[36:37], v[12:13], v[56:57] op_sel:[0,0,1] op_sel_hi:[1,0,0]
	v_pk_mul_f32 v[56:57], v[28:29], v[58:59] op_sel_hi:[1,0]
	v_pk_fma_f32 v[58:59], v[30:31], v[16:17], v[60:61] op_sel:[0,0,1] op_sel_hi:[1,1,0] neg_lo:[0,0,1] neg_hi:[0,0,1]
	v_pk_fma_f32 v[30:31], v[30:31], v[16:17], v[60:61] op_sel:[0,0,1] op_sel_hi:[1,0,0]
	v_pk_mul_f32 v[60:61], v[34:35], v[62:63] op_sel_hi:[1,0]
	;; [unrolled: 3-line block ×4, first 2 shown]
	v_pk_mul_f32 v[54:55], v[38:39], v[54:55] op_sel_hi:[1,0]
	v_pk_fma_f32 v[52:53], v[26:27], v[0:1], v[52:53] neg_lo:[0,0,1] neg_hi:[0,0,1]
	v_pk_fma_f32 v[70:71], v[26:27], v[0:1], v[72:73] op_sel:[1,0,0] op_sel_hi:[0,1,1]
	v_mov_b32_e32 v59, v31
	v_pk_fma_f32 v[30:31], v[34:35], v[18:19], v[60:61] op_sel:[0,0,1] op_sel_hi:[1,1,0] neg_lo:[0,0,1] neg_hi:[0,0,1]
	v_pk_fma_f32 v[34:35], v[34:35], v[18:19], v[60:61] op_sel:[0,0,1] op_sel_hi:[1,0,0]
	v_mov_b32_e32 v63, v41
	v_pk_fma_f32 v[40:41], v[42:43], v[6:7], v[64:65] op_sel:[0,0,1] op_sel_hi:[1,1,0] neg_lo:[0,0,1] neg_hi:[0,0,1]
	;; [unrolled: 3-line block ×3, first 2 shown]
	v_mov_b32_e32 v75, v37
	v_pk_fma_f32 v[36:37], v[38:39], v[14:15], v[54:55] op_sel:[0,0,1] op_sel_hi:[1,1,0] neg_lo:[0,0,1] neg_hi:[0,0,1]
	v_pk_fma_f32 v[26:27], v[38:39], v[14:15], v[54:55] op_sel:[0,0,1] op_sel_hi:[1,0,0]
	v_pk_fma_f32 v[38:39], v[28:29], v[2:3], v[56:57] op_sel:[0,0,1] op_sel_hi:[1,1,0] neg_lo:[0,0,1] neg_hi:[0,0,1]
	v_pk_fma_f32 v[28:29], v[28:29], v[2:3], v[56:57] op_sel:[0,0,1] op_sel_hi:[1,0,0]
	v_mov_b32_e32 v31, v35
	v_mov_b32_e32 v41, v43
	v_pk_add_f32 v[34:35], v[52:53], v[44:45]
	v_pk_add_f32 v[42:43], v[52:53], v[44:45] neg_lo:[0,1] neg_hi:[0,1]
	v_mov_b32_e32 v53, v70
	v_mov_b32_e32 v39, v29
	v_pk_add_f32 v[52:53], v[24:25], v[52:53]
	v_pk_add_f32 v[60:61], v[38:39], v[66:67]
	v_pk_add_f32 v[64:65], v[38:39], v[66:67] neg_lo:[0,1] neg_hi:[0,1]
	v_pk_add_f32 v[38:39], v[52:53], v[38:39]
	v_mov_b32_e32 v37, v27
	v_pk_add_f32 v[38:39], v[38:39], v[58:59]
	v_pk_fma_f32 v[20:21], v[20:21], v[10:11], v[68:69] op_sel:[0,0,1] op_sel_hi:[1,0,0]
	v_pk_add_f32 v[38:39], v[38:39], v[30:31]
	v_pk_add_f32 v[54:55], v[74:75], v[36:37]
	;; [unrolled: 1-line block ×3, first 2 shown]
	v_pk_add_f32 v[56:57], v[74:75], v[36:37] neg_lo:[0,1] neg_hi:[0,1]
	v_pk_add_f32 v[36:37], v[38:39], v[36:37]
	v_mov_b32_e32 v28, v44
	v_mov_b32_e32 v27, v70
	v_mov_b32_e32 v44, v21
	v_pk_add_f32 v[36:37], v[36:37], v[62:63]
	v_mov_b32_e32 v29, v21
	v_pk_add_f32 v[26:27], v[26:27], v[20:21]
	v_pk_add_f32 v[44:45], v[70:71], v[44:45] neg_lo:[0,1] neg_hi:[0,1]
	v_pk_mul_f32 v[20:21], v[56:57], s[14:15] op_sel:[1,0] op_sel_hi:[0,0]
	v_pk_add_f32 v[36:37], v[36:37], v[40:41]
	v_mov_b32_e32 v35, v42
	v_pk_fma_f32 v[68:69], v[54:55], s[16:17], v[20:21] op_sel_hi:[1,0,1]
	v_pk_fma_f32 v[20:21], v[54:55], s[16:17], v[20:21] op_sel_hi:[1,0,1] neg_lo:[0,0,1] neg_hi:[0,0,1]
	v_pk_add_f32 v[36:37], v[36:37], v[66:67]
	v_mov_b32_e32 v26, v44
	v_pk_mul_f32 v[42:43], v[34:35], s[30:31]
	v_mov_b32_e32 v70, v68
	v_mov_b32_e32 v71, v21
	v_pk_add_f32 v[28:29], v[36:37], v[28:29]
	v_pk_mul_f32 v[36:37], v[64:65], s[2:3] op_sel:[1,0] op_sel_hi:[0,0]
	v_pk_add_f32 v[66:67], v[58:59], v[40:41]
	v_pk_add_f32 v[40:41], v[58:59], v[40:41] neg_lo:[0,1] neg_hi:[0,1]
	v_mov_b32_e32 v21, v69
	v_pk_fma_f32 v[68:69], v[44:45], s[28:29], v[42:43] neg_lo:[1,0,0] neg_hi:[1,0,0]
	v_pk_fma_f32 v[82:83], v[26:27], s[28:29], v[42:43]
	v_pk_fma_f32 v[38:39], v[60:61], s[22:23], v[36:37] op_sel_hi:[1,0,1]
	v_pk_fma_f32 v[36:37], v[60:61], s[22:23], v[36:37] op_sel_hi:[1,0,1] neg_lo:[0,0,1] neg_hi:[0,0,1]
	v_pk_mul_f32 v[58:59], v[40:41], s[20:21] op_sel:[1,0] op_sel_hi:[0,0]
	v_pk_add_f32 v[76:77], v[30:31], v[62:63]
	v_pk_add_f32 v[30:31], v[30:31], v[62:63] neg_lo:[0,1] neg_hi:[0,1]
	v_mov_b32_e32 v69, v83
	v_pk_fma_f32 v[42:43], v[26:27], s[28:29], v[42:43] neg_lo:[0,0,1] neg_hi:[0,0,1]
	v_mov_b32_e32 v53, v37
	v_pk_fma_f32 v[72:73], v[66:67], s[26:27], v[58:59] op_sel_hi:[1,0,1]
	v_pk_fma_f32 v[58:59], v[66:67], s[26:27], v[58:59] op_sel_hi:[1,0,1] neg_lo:[0,0,1] neg_hi:[0,0,1]
	v_pk_mul_f32 v[62:63], v[30:31], s[18:19] op_sel:[1,0] op_sel_hi:[0,0]
	v_pk_add_f32 v[68:69], v[24:25], v[68:69]
	v_mov_b32_e32 v83, v43
	v_mov_b32_e32 v37, v39
	;; [unrolled: 1-line block ×4, first 2 shown]
	v_pk_fma_f32 v[78:79], v[76:77], s[24:25], v[62:63] op_sel_hi:[1,0,1]
	v_pk_fma_f32 v[62:63], v[76:77], s[24:25], v[62:63] op_sel_hi:[1,0,1] neg_lo:[0,0,1] neg_hi:[0,0,1]
	v_pk_add_f32 v[42:43], v[24:25], v[82:83]
	v_pk_add_f32 v[36:37], v[36:37], v[68:69]
	v_mov_b32_e32 v59, v73
	v_mov_b32_e32 v74, v72
	;; [unrolled: 1-line block ×3, first 2 shown]
	v_pk_add_f32 v[38:39], v[52:53], v[42:43]
	v_pk_add_f32 v[36:37], v[58:59], v[36:37]
	v_mov_b32_e32 v63, v79
	s_mov_b32 s23, s2
	v_mov_b32_e32 v80, v78
	v_pk_add_f32 v[38:39], v[74:75], v[38:39]
	v_pk_add_f32 v[36:37], v[62:63], v[36:37]
	s_mov_b32 s3, s22
	v_pk_mul_f32 v[42:43], v[34:35], s[22:23]
	v_mov_b32_e32 v63, v61
	v_mov_b32_e32 v61, v64
	s_mov_b32 s25, s18
	v_pk_add_f32 v[38:39], v[80:81], v[38:39]
	v_pk_fma_f32 v[52:53], v[44:45], s[2:3], v[42:43] neg_lo:[1,0,0] neg_hi:[1,0,0]
	v_pk_fma_f32 v[58:59], v[26:27], s[2:3], v[42:43]
	v_mov_b32_e32 v62, v65
	s_mov_b32 s19, s24
	v_pk_mul_f32 v[68:69], v[60:61], s[24:25]
	v_pk_add_f32 v[36:37], v[20:21], v[36:37]
	v_pk_add_f32 v[20:21], v[70:71], v[38:39]
	v_mov_b32_e32 v53, v59
	v_pk_fma_f32 v[70:71], v[64:65], s[18:19], v[68:69] op_sel:[1,0,0] op_sel_hi:[0,1,1] neg_lo:[1,0,0] neg_hi:[1,0,0]
	v_pk_fma_f32 v[72:73], v[62:63], s[18:19], v[68:69]
	v_pk_add_f32 v[52:53], v[24:25], v[52:53]
	v_mov_b32_e32 v71, v73
	s_mov_b32 s30, 0x3e903f40
	v_pk_add_f32 v[52:53], v[70:71], v[52:53]
	v_pk_mul_f32 v[70:71], v[40:41], s[30:31] op_sel:[1,0] op_sel_hi:[0,0]
	v_pk_fma_f32 v[74:75], v[66:67], s[16:17], v[70:71] op_sel_hi:[1,0,1] neg_lo:[0,0,1] neg_hi:[0,0,1]
	v_pk_fma_f32 v[70:71], v[66:67], s[16:17], v[70:71] op_sel_hi:[1,0,1]
	v_mov_b32_e32 v78, v74
	v_mov_b32_e32 v79, v71
	v_pk_add_f32 v[52:53], v[78:79], v[52:53]
	v_pk_mul_f32 v[78:79], v[30:31], s[36:37] op_sel:[1,0] op_sel_hi:[0,0]
	ds_write2_b64 v133, v[28:29], v[36:37] offset1:13
	v_pk_mul_f32 v[28:29], v[56:57], s[34:35] op_sel:[1,0] op_sel_hi:[0,0]
	v_pk_fma_f32 v[80:81], v[76:77], s[26:27], v[78:79] op_sel_hi:[1,0,1] neg_lo:[0,0,1] neg_hi:[0,0,1]
	v_pk_fma_f32 v[78:79], v[76:77], s[26:27], v[78:79] op_sel_hi:[1,0,1]
	v_pk_fma_f32 v[36:37], v[54:55], s[38:39], v[28:29] op_sel_hi:[1,0,1] neg_lo:[0,0,1] neg_hi:[0,0,1]
	v_pk_fma_f32 v[28:29], v[54:55], s[38:39], v[28:29] op_sel_hi:[1,0,1]
	v_mov_b32_e32 v82, v80
	v_mov_b32_e32 v83, v79
	;; [unrolled: 1-line block ×4, first 2 shown]
	v_pk_add_f32 v[52:53], v[82:83], v[52:53]
	s_mov_b32 s27, s20
	v_pk_add_f32 v[38:39], v[38:39], v[52:53]
	s_mov_b32 s21, s26
	v_pk_mul_f32 v[52:53], v[34:35], s[26:27]
	s_mov_b32 s17, s30
	v_pk_fma_f32 v[82:83], v[44:45], s[20:21], v[52:53] neg_lo:[1,0,0] neg_hi:[1,0,0]
	v_pk_fma_f32 v[84:85], v[26:27], s[20:21], v[52:53]
	s_mov_b32 s31, s16
	v_pk_mul_f32 v[86:87], v[60:61], s[16:17]
	v_mov_b32_e32 v83, v85
	v_pk_fma_f32 v[88:89], v[64:65], s[30:31], v[86:87] op_sel:[1,0,0] op_sel_hi:[0,1,1] neg_lo:[1,0,0] neg_hi:[1,0,0]
	v_pk_fma_f32 v[90:91], v[62:63], s[30:31], v[86:87]
	v_pk_add_f32 v[82:83], v[24:25], v[82:83]
	v_mov_b32_e32 v89, v91
	v_pk_add_f32 v[82:83], v[88:89], v[82:83]
	v_pk_mul_f32 v[88:89], v[40:41], s[40:41] op_sel:[1,0] op_sel_hi:[0,0]
	v_pk_fma_f32 v[92:93], v[66:67], s[22:23], v[88:89] op_sel_hi:[1,0,1] neg_lo:[0,0,1] neg_hi:[0,0,1]
	v_pk_fma_f32 v[88:89], v[66:67], s[22:23], v[88:89] op_sel_hi:[1,0,1]
	v_mov_b32_e32 v94, v92
	v_mov_b32_e32 v95, v89
	v_pk_add_f32 v[82:83], v[94:95], v[82:83]
	v_pk_mul_f32 v[94:95], v[30:31], s[28:29] op_sel:[1,0] op_sel_hi:[0,0]
	v_pk_fma_f32 v[96:97], v[76:77], s[38:39], v[94:95] op_sel_hi:[1,0,1] neg_lo:[0,0,1] neg_hi:[0,0,1]
	v_pk_fma_f32 v[94:95], v[76:77], s[38:39], v[94:95] op_sel_hi:[1,0,1]
	v_mov_b32_e32 v98, v96
	;; [unrolled: 6-line block ×3, first 2 shown]
	v_mov_b32_e32 v103, v99
	v_pk_add_f32 v[82:83], v[102:103], v[82:83]
	ds_write2_b64 v133, v[38:39], v[82:83] offset0:26 offset1:39
	v_pk_mul_f32 v[38:39], v[34:35], s[24:25]
	s_mov_b32 s27, s36
	v_pk_fma_f32 v[82:83], v[44:45], s[18:19], v[38:39] neg_lo:[1,0,0] neg_hi:[1,0,0]
	v_pk_fma_f32 v[102:103], v[26:27], s[18:19], v[38:39]
	s_mov_b32 s37, s26
	v_pk_mul_f32 v[104:105], v[60:61], s[26:27]
	v_mov_b32_e32 v83, v103
	v_pk_fma_f32 v[106:107], v[64:65], s[36:37], v[104:105] op_sel:[1,0,0] op_sel_hi:[0,1,1] neg_lo:[1,0,0] neg_hi:[1,0,0]
	v_pk_fma_f32 v[108:109], v[62:63], s[36:37], v[104:105]
	v_pk_add_f32 v[82:83], v[24:25], v[82:83]
	v_mov_b32_e32 v107, v109
	v_pk_add_f32 v[82:83], v[106:107], v[82:83]
	v_pk_mul_f32 v[106:107], v[40:41], s[28:29] op_sel:[1,0] op_sel_hi:[0,0]
	v_pk_fma_f32 v[110:111], v[66:67], s[38:39], v[106:107] op_sel_hi:[1,0,1] neg_lo:[0,0,1] neg_hi:[0,0,1]
	v_pk_fma_f32 v[106:107], v[66:67], s[38:39], v[106:107] op_sel_hi:[1,0,1]
	v_mov_b32_e32 v112, v110
	v_mov_b32_e32 v113, v107
	v_pk_add_f32 v[82:83], v[112:113], v[82:83]
	v_pk_mul_f32 v[112:113], v[30:31], s[14:15] op_sel:[1,0] op_sel_hi:[0,0]
	v_pk_fma_f32 v[114:115], v[76:77], s[16:17], v[112:113] op_sel_hi:[1,0,1] neg_lo:[0,0,1] neg_hi:[0,0,1]
	v_pk_fma_f32 v[112:113], v[76:77], s[16:17], v[112:113] op_sel_hi:[1,0,1]
	v_mov_b32_e32 v116, v114
	v_mov_b32_e32 v117, v113
	v_pk_add_f32 v[82:83], v[116:117], v[82:83]
	v_pk_mul_f32 v[116:117], v[56:57], s[40:41] op_sel:[1,0] op_sel_hi:[0,0]
	v_pk_fma_f32 v[118:119], v[54:55], s[22:23], v[116:117] op_sel_hi:[1,0,1] neg_lo:[0,0,1] neg_hi:[0,0,1]
	v_pk_fma_f32 v[116:117], v[54:55], s[22:23], v[116:117] op_sel_hi:[1,0,1]
	s_mov_b32 s17, s14
	v_mov_b32_e32 v120, v118
	v_mov_b32_e32 v121, v117
	v_pk_mul_f32 v[56:57], v[56:57], s[20:21] op_sel:[1,0] op_sel_hi:[0,0]
	s_mov_b32 s15, s16
	v_pk_mul_f32 v[34:35], v[34:35], s[16:17]
	s_mov_b32 s16, s29
	s_mov_b32 s17, s34
	v_pk_add_f32 v[82:83], v[120:121], v[82:83]
	v_pk_fma_f32 v[120:121], v[54:55], s[26:27], v[56:57] op_sel_hi:[1,0,1] neg_lo:[0,0,1] neg_hi:[0,0,1]
	v_pk_fma_f32 v[54:55], v[54:55], s[26:27], v[56:57] op_sel_hi:[1,0,1]
	v_pk_fma_f32 v[44:45], v[44:45], s[14:15], v[34:35] neg_lo:[1,0,0] neg_hi:[1,0,0]
	v_pk_fma_f32 v[56:57], v[26:27], s[14:15], v[34:35]
	s_mov_b32 s35, s29
	v_pk_mul_f32 v[60:61], v[60:61], s[16:17]
	v_mov_b32_e32 v45, v57
	v_pk_fma_f32 v[64:65], v[64:65], s[34:35], v[60:61] op_sel:[1,0,0] op_sel_hi:[0,1,1] neg_lo:[1,0,0] neg_hi:[1,0,0]
	v_pk_fma_f32 v[122:123], v[62:63], s[34:35], v[60:61]
	v_pk_add_f32 v[44:45], v[24:25], v[44:45]
	v_mov_b32_e32 v65, v123
	v_pk_mul_f32 v[40:41], v[40:41], s[18:19] op_sel:[1,0] op_sel_hi:[0,0]
	v_pk_fma_f32 v[34:35], v[26:27], s[14:15], v[34:35] neg_lo:[0,0,1] neg_hi:[0,0,1]
	v_pk_add_f32 v[44:45], v[64:65], v[44:45]
	v_pk_fma_f32 v[64:65], v[66:67], s[24:25], v[40:41] op_sel_hi:[1,0,1] neg_lo:[0,0,1] neg_hi:[0,0,1]
	v_pk_fma_f32 v[40:41], v[66:67], s[24:25], v[40:41] op_sel_hi:[1,0,1]
	v_mov_b32_e32 v57, v35
	v_pk_fma_f32 v[34:35], v[62:63], s[34:35], v[60:61] neg_lo:[0,0,1] neg_hi:[0,0,1]
	v_mov_b32_e32 v66, v64
	v_mov_b32_e32 v67, v41
	v_pk_mul_f32 v[30:31], v[30:31], s[40:41] op_sel:[1,0] op_sel_hi:[0,0]
	v_mov_b32_e32 v123, v35
	v_pk_add_f32 v[34:35], v[24:25], v[56:57]
	v_pk_add_f32 v[44:45], v[66:67], v[44:45]
	v_pk_fma_f32 v[66:67], v[76:77], s[22:23], v[30:31] op_sel_hi:[1,0,1] neg_lo:[0,0,1] neg_hi:[0,0,1]
	v_pk_fma_f32 v[30:31], v[76:77], s[22:23], v[30:31] op_sel_hi:[1,0,1]
	v_pk_add_f32 v[34:35], v[122:123], v[34:35]
	v_mov_b32_e32 v41, v65
	v_mov_b32_e32 v77, v31
	v_pk_add_f32 v[34:35], v[40:41], v[34:35]
	v_mov_b32_e32 v31, v67
	v_pk_add_f32 v[30:31], v[30:31], v[34:35]
	v_pk_fma_f32 v[34:35], v[26:27], s[18:19], v[38:39] neg_lo:[0,0,1] neg_hi:[0,0,1]
	v_mov_b32_e32 v107, v111
	v_mov_b32_e32 v103, v35
	v_pk_fma_f32 v[34:35], v[62:63], s[36:37], v[104:105] neg_lo:[0,0,1] neg_hi:[0,0,1]
	v_mov_b32_e32 v76, v66
	v_mov_b32_e32 v109, v35
	v_pk_add_f32 v[34:35], v[24:25], v[102:103]
	v_mov_b32_e32 v113, v115
	v_pk_add_f32 v[34:35], v[108:109], v[34:35]
	v_pk_add_f32 v[44:45], v[76:77], v[44:45]
	;; [unrolled: 1-line block ×3, first 2 shown]
	v_mov_b32_e32 v77, v55
	v_mov_b32_e32 v55, v121
	;; [unrolled: 1-line block ×3, first 2 shown]
	v_pk_add_f32 v[34:35], v[112:113], v[34:35]
	v_pk_add_f32 v[30:31], v[54:55], v[30:31]
	;; [unrolled: 1-line block ×3, first 2 shown]
	ds_write2_b64 v133, v[30:31], v[34:35] offset0:78 offset1:91
	v_pk_fma_f32 v[30:31], v[26:27], s[20:21], v[52:53] neg_lo:[0,0,1] neg_hi:[0,0,1]
	v_pk_fma_f32 v[26:27], v[26:27], s[2:3], v[42:43] neg_lo:[0,0,1] neg_hi:[0,0,1]
	v_mov_b32_e32 v85, v31
	v_pk_fma_f32 v[30:31], v[62:63], s[30:31], v[86:87] neg_lo:[0,0,1] neg_hi:[0,0,1]
	v_mov_b32_e32 v59, v27
	;; [unrolled: 2-line block ×3, first 2 shown]
	v_pk_add_f32 v[30:31], v[24:25], v[84:85]
	v_mov_b32_e32 v73, v27
	v_pk_add_f32 v[24:25], v[24:25], v[58:59]
	v_pk_add_f32 v[30:31], v[90:91], v[30:31]
	v_mov_b32_e32 v89, v93
	v_pk_add_f32 v[24:25], v[72:73], v[24:25]
	v_mov_b32_e32 v71, v75
	;; [unrolled: 2-line block ×4, first 2 shown]
	v_mov_b32_e32 v76, v120
	v_mov_b32_e32 v99, v101
	v_pk_add_f32 v[30:31], v[94:95], v[30:31]
	v_mov_b32_e32 v29, v37
	v_pk_add_f32 v[24:25], v[78:79], v[24:25]
	v_pk_add_f32 v[44:45], v[76:77], v[44:45]
	v_pk_add_f32 v[30:31], v[98:99], v[30:31]
	v_pk_add_f32 v[24:25], v[28:29], v[24:25]
	ds_write2_b64 v133, v[82:83], v[44:45] offset0:52 offset1:65
	ds_write2_b64 v133, v[30:31], v[24:25] offset0:104 offset1:117
	ds_write_b64 v133, v[20:21] offset:1040
	s_waitcnt lgkmcnt(0)
	; wave barrier
	s_waitcnt lgkmcnt(0)
	ds_read2_b64 v[38:41], v132 offset1:26
	ds_read2_b64 v[34:37], v132 offset0:104 offset1:143
	ds_read2_b64 v[24:27], v132 offset0:169 offset1:195
	;; [unrolled: 1-line block ×4, first 2 shown]
	s_and_saveexec_b64 s[2:3], s[0:1]
	s_cbranch_execz .LBB0_9
; %bb.8:
	v_add_u32_e32 v20, 0x400, v132
	ds_read2_b64 v[20:23], v20 offset0:2 offset1:145
	s_mov_b64 s[14:15], 0x82
	v_lshl_add_u64 v[32:33], v[46:47], 0, s[14:15]
.LBB0_9:
	s_or_b64 exec, exec, s[2:3]
	global_load_dwordx2 v[54:55], v49, s[10:11] offset:1456
	global_load_dwordx2 v[58:59], v49, s[10:11] offset:1040
	;; [unrolled: 1-line block ×5, first 2 shown]
	v_lshl_add_u64 v[32:33], v[32:33], 3, s[10:11]
	global_load_dwordx2 v[52:53], v[32:33], off offset:1040
	v_lshl_add_u32 v47, v46, 3, v131
	v_add_u32_e32 v134, v49, v131
	s_waitcnt vmcnt(5)
	v_mov_b32_e32 v32, v55
	s_waitcnt lgkmcnt(2)
	v_pk_mul_f32 v[64:65], v[26:27], v[54:55] op_sel:[1,0] op_sel_hi:[0,1]
	s_waitcnt vmcnt(4)
	v_pk_mul_f32 v[66:67], v[36:37], v[58:59] op_sel:[0,1]
	s_waitcnt vmcnt(3)
	v_pk_mul_f32 v[68:69], v[24:25], v[56:57] op_sel:[0,1]
	s_waitcnt vmcnt(2) lgkmcnt(0)
	v_pk_mul_f32 v[70:71], v[28:29], v[62:63] op_sel:[0,1]
	s_waitcnt vmcnt(1)
	v_pk_mul_f32 v[72:73], v[30:31], v[60:61] op_sel:[0,1]
	v_pk_mul_f32 v[32:33], v[26:27], v[32:33] op_sel:[1,0] op_sel_hi:[0,1]
	v_mov_b32_e32 v65, v64
	v_pk_fma_f32 v[74:75], v[36:37], v[58:59], v[66:67] op_sel:[0,0,1] op_sel_hi:[1,1,0] neg_lo:[0,0,1] neg_hi:[0,0,1]
	v_pk_fma_f32 v[36:37], v[36:37], v[58:59], v[66:67] op_sel:[0,0,1] op_sel_hi:[1,0,0]
	v_pk_fma_f32 v[66:67], v[24:25], v[56:57], v[68:69] op_sel:[0,0,1] op_sel_hi:[1,1,0] neg_lo:[0,0,1] neg_hi:[0,0,1]
	v_pk_fma_f32 v[24:25], v[24:25], v[56:57], v[68:69] op_sel:[0,0,1] op_sel_hi:[1,0,0]
	;; [unrolled: 2-line block ×4, first 2 shown]
	s_waitcnt vmcnt(0)
	v_pk_mul_f32 v[72:73], v[22:23], v[52:53] op_sel:[1,0]
	v_pk_fma_f32 v[76:77], v[26:27], v[54:55], v[32:33] neg_lo:[0,0,1] neg_hi:[0,0,1]
	v_pk_fma_f32 v[26:27], v[26:27], v[54:55], v[64:65] op_sel:[1,0,0] op_sel_hi:[0,1,1]
	v_mov_b32_e32 v67, v25
	v_mov_b32_e32 v69, v29
	v_pk_fma_f32 v[64:65], v[22:23], v[52:53], v[72:73] op_sel:[0,0,1] op_sel_hi:[1,1,0] neg_lo:[0,0,1] neg_hi:[0,0,1]
	v_pk_fma_f32 v[22:23], v[22:23], v[52:53], v[72:73] op_sel:[0,0,1] op_sel_hi:[0,1,0]
	v_mov_b32_e32 v75, v37
	v_mov_b32_e32 v71, v31
	v_pk_add_f32 v[28:29], v[40:41], v[66:67] neg_lo:[0,1] neg_hi:[0,1]
	v_mov_b32_e32 v65, v23
	v_mov_b32_e32 v77, v27
	v_pk_add_f32 v[32:33], v[44:45], v[68:69] neg_lo:[0,1] neg_hi:[0,1]
	v_pk_add_f32 v[24:25], v[38:39], v[74:75] neg_lo:[0,1] neg_hi:[0,1]
	;; [unrolled: 1-line block ×3, first 2 shown]
	v_pk_fma_f32 v[26:27], v[40:41], 2.0, v[28:29] op_sel_hi:[1,0,1] neg_lo:[0,0,1] neg_hi:[0,0,1]
	v_pk_add_f32 v[40:41], v[42:43], v[76:77] neg_lo:[0,1] neg_hi:[0,1]
	v_pk_fma_f32 v[30:31], v[44:45], 2.0, v[32:33] op_sel_hi:[1,0,1] neg_lo:[0,0,1] neg_hi:[0,0,1]
	v_pk_add_f32 v[44:45], v[20:21], v[64:65] neg_lo:[0,1] neg_hi:[0,1]
	v_pk_fma_f32 v[22:23], v[38:39], 2.0, v[24:25] op_sel_hi:[1,0,1] neg_lo:[0,0,1] neg_hi:[0,0,1]
	v_pk_fma_f32 v[34:35], v[34:35], 2.0, v[36:37] op_sel_hi:[1,0,1] neg_lo:[0,0,1] neg_hi:[0,0,1]
	v_pk_fma_f32 v[38:39], v[42:43], 2.0, v[40:41] op_sel_hi:[1,0,1] neg_lo:[0,0,1] neg_hi:[0,0,1]
	v_pk_fma_f32 v[42:43], v[20:21], 2.0, v[44:45] op_sel_hi:[1,0,1] neg_lo:[0,0,1] neg_hi:[0,0,1]
	ds_write_b64 v47, v[32:33] offset:1768
	ds_write2_b64 v47, v[22:23], v[26:27] offset1:26
	ds_write2_b64 v47, v[28:29], v[40:41] offset0:169 offset1:195
	ds_write2_b64 v47, v[34:35], v[24:25] offset0:104 offset1:143
	;; [unrolled: 1-line block ×3, first 2 shown]
	ds_write_b64 v134, v[36:37] offset:1976
	s_and_saveexec_b64 s[2:3], s[0:1]
	s_cbranch_execz .LBB0_11
; %bb.10:
	v_add_u32_e32 v20, 0x400, v47
	ds_write2_b64 v20, v[42:43], v[44:45] offset0:2 offset1:145
.LBB0_11:
	s_or_b64 exec, exec, s[2:3]
	s_waitcnt lgkmcnt(0)
	; wave barrier
	s_waitcnt lgkmcnt(0)
	s_and_saveexec_b64 s[2:3], vcc
	s_cbranch_execz .LBB0_13
; %bb.12:
	global_load_dwordx2 v[20:21], v49, s[8:9] offset:2288
	ds_read2_b64 v[64:67], v47 offset1:22
	s_add_u32 s10, s8, 0x8f0
	s_addc_u32 s11, s9, 0
	s_waitcnt vmcnt(0) lgkmcnt(0)
	v_mul_f32_e32 v68, v65, v21
	v_mul_f32_e32 v69, v64, v21
	v_fma_f32 v68, v64, v20, -v68
	v_fmac_f32_e32 v69, v65, v20
	global_load_dwordx2 v[20:21], v49, s[10:11] offset:176
	s_waitcnt vmcnt(0)
	v_mul_f32_e32 v64, v67, v21
	v_mul_f32_e32 v65, v66, v21
	v_fma_f32 v64, v66, v20, -v64
	v_fmac_f32_e32 v65, v67, v20
	global_load_dwordx2 v[20:21], v49, s[10:11] offset:352
	ds_write2_b64 v47, v[68:69], v[64:65] offset1:22
	ds_read2_b64 v[64:67], v47 offset0:44 offset1:66
	s_waitcnt vmcnt(0) lgkmcnt(0)
	v_mul_f32_e32 v68, v65, v21
	v_mul_f32_e32 v69, v64, v21
	v_fma_f32 v68, v64, v20, -v68
	v_fmac_f32_e32 v69, v65, v20
	global_load_dwordx2 v[20:21], v49, s[10:11] offset:528
	s_waitcnt vmcnt(0)
	v_mul_f32_e32 v64, v67, v21
	v_mul_f32_e32 v65, v66, v21
	v_fma_f32 v64, v66, v20, -v64
	v_fmac_f32_e32 v65, v67, v20
	global_load_dwordx2 v[20:21], v49, s[10:11] offset:704
	ds_write2_b64 v47, v[68:69], v[64:65] offset0:44 offset1:66
	ds_read2_b64 v[64:67], v47 offset0:88 offset1:110
	s_waitcnt vmcnt(0) lgkmcnt(0)
	v_mul_f32_e32 v68, v65, v21
	v_mul_f32_e32 v69, v64, v21
	v_fma_f32 v68, v64, v20, -v68
	v_fmac_f32_e32 v69, v65, v20
	global_load_dwordx2 v[20:21], v49, s[10:11] offset:880
	s_waitcnt vmcnt(0)
	v_mul_f32_e32 v64, v67, v21
	v_mul_f32_e32 v65, v66, v21
	v_fma_f32 v64, v66, v20, -v64
	v_fmac_f32_e32 v65, v67, v20
	global_load_dwordx2 v[20:21], v49, s[10:11] offset:1056
	ds_write2_b64 v47, v[68:69], v[64:65] offset0:88 offset1:110
	;; [unrolled: 14-line block ×4, first 2 shown]
	ds_read2_b64 v[64:67], v47 offset0:220 offset1:242
	s_waitcnt vmcnt(0) lgkmcnt(0)
	v_mul_f32_e32 v68, v65, v21
	v_mul_f32_e32 v69, v64, v21
	v_fma_f32 v68, v64, v20, -v68
	v_fmac_f32_e32 v69, v65, v20
	global_load_dwordx2 v[20:21], v49, s[10:11] offset:1936
	s_waitcnt vmcnt(0)
	v_mul_f32_e32 v64, v67, v21
	v_mul_f32_e32 v65, v66, v21
	v_fma_f32 v64, v66, v20, -v64
	v_fmac_f32_e32 v65, v67, v20
	ds_write2_b64 v47, v[68:69], v[64:65] offset0:220 offset1:242
	global_load_dwordx2 v[64:65], v49, s[10:11] offset:2112
	ds_read_b64 v[20:21], v47 offset:2112
	s_waitcnt vmcnt(0) lgkmcnt(0)
	v_mul_f32_e32 v66, v21, v65
	v_mul_f32_e32 v67, v20, v65
	v_fma_f32 v66, v20, v64, -v66
	v_fmac_f32_e32 v67, v21, v64
	ds_write_b64 v47, v[66:67] offset:2112
.LBB0_13:
	s_or_b64 exec, exec, s[2:3]
	s_waitcnt lgkmcnt(0)
	; wave barrier
	s_waitcnt lgkmcnt(0)
	s_and_saveexec_b64 s[2:3], vcc
	s_cbranch_execz .LBB0_15
; %bb.14:
	ds_read2_b64 v[22:25], v47 offset1:22
	ds_read2_b64 v[26:29], v47 offset0:44 offset1:66
	ds_read2_b64 v[38:41], v47 offset0:88 offset1:110
	;; [unrolled: 1-line block ×5, first 2 shown]
	ds_read_b64 v[50:51], v47 offset:2112
.LBB0_15:
	s_or_b64 exec, exec, s[2:3]
	s_waitcnt lgkmcnt(0)
	v_pk_add_f32 v[20:21], v[24:25], v[50:51] neg_lo:[0,1] neg_hi:[0,1]
	v_pk_add_f32 v[104:105], v[24:25], v[50:51]
	v_mov_b32_e32 v83, v20
	v_mov_b32_e32 v82, v104
	v_mov_b32_e32 v104, v21
	v_pk_add_f32 v[20:21], v[26:27], v[44:45] neg_lo:[0,1] neg_hi:[0,1]
	v_pk_add_f32 v[102:103], v[26:27], v[44:45]
	v_mov_b32_e32 v85, v20
	v_mov_b32_e32 v84, v102
	v_mov_b32_e32 v102, v21
	;; [unrolled: 5-line block ×3, first 2 shown]
	v_pk_add_f32 v[20:21], v[38:39], v[36:37] neg_lo:[0,1] neg_hi:[0,1]
	v_pk_add_f32 v[98:99], v[38:39], v[36:37]
	s_mov_b32 s38, 0xbf52af12
	v_mov_b32_e32 v88, v98
	v_mov_b32_e32 v89, v20
	;; [unrolled: 1-line block ×3, first 2 shown]
	v_pk_add_f32 v[20:21], v[40:41], v[34:35] neg_lo:[0,1] neg_hi:[0,1]
	v_pk_add_f32 v[96:97], v[40:41], v[34:35]
	s_mov_b32 s39, 0x3f116cb1
	s_mov_b32 s30, 0xbf6f5d39
	v_mov_b32_e32 v90, v96
	v_mov_b32_e32 v91, v20
	;; [unrolled: 1-line block ×3, first 2 shown]
	v_pk_add_f32 v[20:21], v[30:31], v[32:33] neg_lo:[0,1] neg_hi:[0,1]
	v_pk_add_f32 v[94:95], v[30:31], v[32:33]
	v_pk_mul_f32 v[106:107], v[104:105], s[38:39]
	s_mov_b32 s2, s39
	s_mov_b32 s3, s38
	;; [unrolled: 1-line block ×3, first 2 shown]
	v_mov_b32_e32 v92, v94
	v_mov_b32_e32 v93, v20
	;; [unrolled: 1-line block ×3, first 2 shown]
	v_pk_fma_f32 v[20:21], v[82:83], s[2:3], v[106:107] neg_lo:[0,0,1] neg_hi:[0,0,1]
	v_pk_fma_f32 v[108:109], v[82:83], s[2:3], v[106:107]
	v_pk_mul_f32 v[110:111], v[102:103], s[30:31]
	s_mov_b32 s10, s31
	s_mov_b32 s11, s30
	v_mov_b32_e32 v21, v109
	v_pk_fma_f32 v[114:115], v[84:85], s[10:11], v[110:111] neg_lo:[0,0,1] neg_hi:[0,0,1]
	v_pk_fma_f32 v[112:113], v[84:85], s[10:11], v[110:111]
	s_mov_b32 s36, 0xbe750f2a
	v_pk_add_f32 v[20:21], v[22:23], v[20:21]
	v_mov_b32_e32 v115, v113
	s_mov_b32 s37, 0xbf788fa5
	v_pk_add_f32 v[20:21], v[114:115], v[20:21]
	v_pk_mul_f32 v[114:115], v[100:101], s[36:37]
	s_mov_b32 s14, s37
	s_mov_b32 s15, s36
	v_pk_fma_f32 v[118:119], v[86:87], s[14:15], v[114:115] neg_lo:[0,0,1] neg_hi:[0,0,1]
	v_pk_fma_f32 v[116:117], v[86:87], s[14:15], v[114:115]
	s_mov_b32 s44, 0x3f29c268
	v_mov_b32_e32 v119, v117
	s_mov_b32 s45, 0xbf3f9e67
	v_pk_add_f32 v[20:21], v[118:119], v[20:21]
	v_pk_mul_f32 v[118:119], v[98:99], s[44:45]
	s_mov_b32 s20, s45
	s_mov_b32 s21, s44
	v_pk_fma_f32 v[122:123], v[88:89], s[20:21], v[118:119] neg_lo:[0,0,1] neg_hi:[0,0,1]
	v_pk_fma_f32 v[120:121], v[88:89], s[20:21], v[118:119]
	s_mov_b32 s34, 0x3f7e222b
	;; [unrolled: 9-line block ×3, first 2 shown]
	v_mov_b32_e32 v127, v125
	s_mov_b32 s41, 0x3f62ad3f
	v_pk_add_f32 v[20:21], v[126:127], v[20:21]
	v_pk_mul_f32 v[126:127], v[94:95], s[40:41]
	s_mov_b32 s18, s41
	s_mov_b32 s19, s40
	v_pk_fma_f32 v[136:137], v[92:93], s[18:19], v[126:127] neg_lo:[0,0,1] neg_hi:[0,0,1]
	v_pk_fma_f32 v[128:129], v[92:93], s[18:19], v[126:127]
	v_mov_b32_e32 v66, v12
	v_mov_b32_e32 v137, v129
	;; [unrolled: 1-line block ×28, first 2 shown]
	v_pk_add_f32 v[20:21], v[136:137], v[20:21]
	s_waitcnt lgkmcnt(0)
	; wave barrier
	s_and_saveexec_b64 s[16:17], vcc
	s_cbranch_execz .LBB0_17
; %bb.16:
	v_pk_add_f32 v[24:25], v[24:25], v[22:23]
	v_pk_mul_f32 v[136:137], v[82:83], s[2:3]
	v_pk_add_f32 v[24:25], v[26:27], v[24:25]
	v_mul_lo_u16_e32 v109, 13, v46
	v_pk_add_f32 v[24:25], v[28:29], v[24:25]
	v_pk_add_f32 v[106:107], v[106:107], v[136:137] neg_lo:[0,1] neg_hi:[0,1]
	v_pk_add_f32 v[24:25], v[38:39], v[24:25]
	v_pk_mul_f32 v[138:139], v[84:85], s[10:11]
	v_pk_add_f32 v[24:25], v[40:41], v[24:25]
	v_lshl_add_u32 v131, v109, 3, v131
	v_pk_add_f32 v[24:25], v[30:31], v[24:25]
	s_mov_b32 s23, 0xbeedf032
	v_pk_add_f32 v[24:25], v[32:33], v[24:25]
	v_mov_b32_e32 v109, v107
	v_pk_mul_f32 v[140:141], v[86:87], s[14:15]
	v_pk_add_f32 v[24:25], v[34:35], v[24:25]
	s_mov_b32 s24, s23
	s_mov_b32 s25, s41
	v_pk_add_f32 v[106:107], v[22:23], v[108:109]
	v_pk_add_f32 v[108:109], v[110:111], v[138:139] neg_lo:[0,1] neg_hi:[0,1]
	v_pk_mul_f32 v[142:143], v[88:89], s[20:21]
	v_pk_add_f32 v[24:25], v[36:37], v[24:25]
	v_pk_mul_f32 v[26:27], v[104:105], s[24:25]
	s_mov_b32 s25, 0xbf7e222b
	v_mov_b32_e32 v113, v109
	v_pk_add_f32 v[108:109], v[114:115], v[140:141] neg_lo:[0,1] neg_hi:[0,1]
	v_pk_mul_f32 v[144:145], v[90:91], s[28:29]
	v_pk_add_f32 v[24:25], v[42:43], v[24:25]
	s_mov_b32 s48, s25
	s_mov_b32 s49, s35
	v_pk_add_f32 v[106:107], v[112:113], v[106:107]
	v_mov_b32_e32 v117, v109
	v_pk_add_f32 v[108:109], v[118:119], v[142:143] neg_lo:[0,1] neg_hi:[0,1]
	v_pk_add_f32 v[24:25], v[44:45], v[24:25]
	s_mov_b32 s22, s41
	s_mov_b32 s24, s35
	v_pk_add_f32 v[106:107], v[116:117], v[106:107]
	v_mov_b32_e32 v121, v109
	v_pk_add_f32 v[108:109], v[122:123], v[144:145] neg_lo:[0,1] neg_hi:[0,1]
	v_pk_mul_f32 v[116:117], v[104:105], s[48:49]
	v_pk_mul_f32 v[146:147], v[92:93], s[18:19]
	v_pk_add_f32 v[148:149], v[50:51], v[24:25]
	v_pk_fma_f32 v[24:25], v[82:83], s[22:23], v[26:27]
	v_pk_fma_f32 v[28:29], v[82:83], s[22:23], v[26:27] neg_lo:[1,0,0] neg_hi:[1,0,0]
	v_pk_add_f32 v[106:107], v[120:121], v[106:107]
	v_mov_b32_e32 v125, v109
	v_pk_mul_f32 v[112:113], v[102:103], s[36:37]
	s_mov_b32 s43, 0x3f6f5d39
	v_pk_fma_f32 v[120:121], v[82:83], s[24:25], v[116:117]
	v_pk_fma_f32 v[122:123], v[82:83], s[24:25], v[116:117] neg_lo:[1,0,0] neg_hi:[1,0,0]
	v_mov_b32_e32 v28, v24
	v_pk_mul_f32 v[30:31], v[102:103], s[38:39]
	v_pk_add_f32 v[106:107], v[124:125], v[106:107]
	v_pk_add_f32 v[108:109], v[126:127], v[146:147] neg_lo:[0,1] neg_hi:[0,1]
	s_mov_b32 s50, s43
	s_mov_b32 s51, s31
	v_mov_b32_e32 v122, v120
	v_pk_fma_f32 v[124:125], v[84:85], s[14:15], v[112:113]
	v_pk_fma_f32 v[126:127], v[84:85], s[14:15], v[112:113] neg_lo:[1,0,0] neg_hi:[1,0,0]
	v_pk_add_f32 v[32:33], v[22:23], v[28:29]
	v_pk_fma_f32 v[28:29], v[84:85], s[2:3], v[30:31]
	v_pk_fma_f32 v[34:35], v[84:85], s[2:3], v[30:31] neg_lo:[1,0,0] neg_hi:[1,0,0]
	v_mov_b32_e32 v129, v109
	s_mov_b32 s42, s31
	v_pk_mul_f32 v[114:115], v[100:101], s[50:51]
	v_pk_add_f32 v[122:123], v[22:23], v[122:123]
	v_mov_b32_e32 v126, v124
	v_mov_b32_e32 v34, v28
	v_pk_add_f32 v[118:119], v[128:129], v[106:107]
	v_pk_add_f32 v[122:123], v[126:127], v[122:123]
	v_pk_fma_f32 v[126:127], v[86:87], s[42:43], v[114:115]
	v_pk_fma_f32 v[128:129], v[86:87], s[42:43], v[114:115] neg_lo:[1,0,0] neg_hi:[1,0,0]
	v_pk_add_f32 v[36:37], v[34:35], v[32:33]
	v_pk_mul_f32 v[34:35], v[100:101], s[48:49]
	v_pk_mul_f32 v[110:111], v[98:99], s[40:41]
	v_mov_b32_e32 v128, v126
	v_pk_fma_f32 v[32:33], v[86:87], s[24:25], v[34:35]
	v_pk_fma_f32 v[38:39], v[86:87], s[24:25], v[34:35] neg_lo:[1,0,0] neg_hi:[1,0,0]
	v_pk_add_f32 v[122:123], v[128:129], v[122:123]
	v_pk_fma_f32 v[128:129], v[88:89], s[18:19], v[110:111]
	v_pk_fma_f32 v[136:137], v[88:89], s[18:19], v[110:111] neg_lo:[1,0,0] neg_hi:[1,0,0]
	v_mov_b32_e32 v38, v32
	s_mov_b32 s27, 0xbf29c268
	v_pk_mul_f32 v[108:109], v[96:97], s[38:39]
	v_mov_b32_e32 v136, v128
	v_pk_add_f32 v[40:41], v[38:39], v[36:37]
	v_pk_mul_f32 v[38:39], v[98:99], s[30:31]
	s_mov_b32 s46, s27
	s_mov_b32 s47, s45
	v_pk_add_f32 v[122:123], v[136:137], v[122:123]
	v_pk_fma_f32 v[136:137], v[90:91], s[2:3], v[108:109]
	v_pk_fma_f32 v[138:139], v[90:91], s[2:3], v[108:109] neg_lo:[1,0,0] neg_hi:[1,0,0]
	v_pk_fma_f32 v[36:37], v[88:89], s[10:11], v[38:39]
	v_pk_fma_f32 v[42:43], v[88:89], s[10:11], v[38:39] neg_lo:[1,0,0] neg_hi:[1,0,0]
	s_mov_b32 s26, s45
	v_pk_mul_f32 v[106:107], v[94:95], s[46:47]
	v_mov_b32_e32 v138, v136
	v_mov_b32_e32 v42, v36
	v_pk_add_f32 v[122:123], v[138:139], v[122:123]
	v_pk_fma_f32 v[138:139], v[92:93], s[26:27], v[106:107]
	v_pk_fma_f32 v[140:141], v[92:93], s[26:27], v[106:107] neg_lo:[1,0,0] neg_hi:[1,0,0]
	v_pk_add_f32 v[44:45], v[42:43], v[40:41]
	v_pk_mul_f32 v[42:43], v[96:97], s[46:47]
	v_mov_b32_e32 v140, v138
	v_pk_fma_f32 v[40:41], v[90:91], s[26:27], v[42:43]
	v_pk_fma_f32 v[50:51], v[90:91], s[26:27], v[42:43] neg_lo:[1,0,0] neg_hi:[1,0,0]
	v_pk_add_f32 v[122:123], v[140:141], v[122:123]
	v_mov_b32_e32 v50, v40
	ds_write2_b64 v131, v[118:119], v[122:123] offset0:2 offset1:3
	v_pk_mul_f32 v[118:119], v[104:105], s[30:31]
	v_pk_add_f32 v[150:151], v[50:51], v[44:45]
	v_pk_mul_f32 v[50:51], v[94:95], s[36:37]
	v_pk_fma_f32 v[122:123], v[82:83], s[10:11], v[118:119]
	v_pk_fma_f32 v[140:141], v[82:83], s[10:11], v[118:119] neg_lo:[1,0,0] neg_hi:[1,0,0]
	v_pk_mul_f32 v[142:143], v[102:103], s[44:45]
	v_pk_fma_f32 v[44:45], v[92:93], s[14:15], v[50:51]
	v_pk_fma_f32 v[152:153], v[92:93], s[14:15], v[50:51] neg_lo:[1,0,0] neg_hi:[1,0,0]
	v_mov_b32_e32 v140, v122
	v_pk_fma_f32 v[144:145], v[84:85], s[20:21], v[142:143]
	v_pk_fma_f32 v[146:147], v[84:85], s[20:21], v[142:143] neg_lo:[1,0,0] neg_hi:[1,0,0]
	v_mov_b32_e32 v152, v44
	v_pk_add_f32 v[140:141], v[22:23], v[140:141]
	v_mov_b32_e32 v146, v144
	v_pk_add_f32 v[150:151], v[152:153], v[150:151]
	v_pk_add_f32 v[140:141], v[146:147], v[140:141]
	v_pk_mul_f32 v[146:147], v[100:101], s[40:41]
	ds_write2_b64 v131, v[148:149], v[150:151] offset1:1
	v_pk_fma_f32 v[148:149], v[86:87], s[18:19], v[146:147]
	v_pk_fma_f32 v[150:151], v[86:87], s[18:19], v[146:147] neg_lo:[1,0,0] neg_hi:[1,0,0]
	s_mov_b32 s45, 0x3e750f2a
	v_mov_b32_e32 v150, v148
	v_pk_add_f32 v[140:141], v[150:151], v[140:141]
	v_pk_mul_f32 v[150:151], v[98:99], s[48:49]
	s_mov_b32 s50, s45
	v_pk_fma_f32 v[152:153], v[88:89], s[24:25], v[150:151]
	v_pk_fma_f32 v[154:155], v[88:89], s[24:25], v[150:151] neg_lo:[1,0,0] neg_hi:[1,0,0]
	s_mov_b32 s51, s37
	v_mov_b32_e32 v154, v152
	v_pk_add_f32 v[140:141], v[154:155], v[140:141]
	s_mov_b32 s44, s37
	v_pk_mul_f32 v[154:155], v[96:97], s[50:51]
	s_mov_b32 s49, 0x3f52af12
	v_pk_fma_f32 v[156:157], v[90:91], s[44:45], v[154:155]
	v_pk_fma_f32 v[158:159], v[90:91], s[44:45], v[154:155] neg_lo:[1,0,0] neg_hi:[1,0,0]
	s_mov_b32 s52, s49
	v_mov_b32_e32 v158, v156
	s_mov_b32 s53, s39
	v_pk_add_f32 v[140:141], v[158:159], v[140:141]
	s_mov_b32 s48, s39
	v_pk_mul_f32 v[158:159], v[94:95], s[52:53]
	v_pk_mul_f32 v[164:165], v[102:103], s[34:35]
	v_pk_fma_f32 v[160:161], v[92:93], s[48:49], v[158:159]
	v_pk_fma_f32 v[162:163], v[92:93], s[48:49], v[158:159] neg_lo:[1,0,0] neg_hi:[1,0,0]
	v_pk_fma_f32 v[178:179], v[84:85], s[28:29], v[164:165]
	v_mov_b32_e32 v162, v160
	v_pk_add_f32 v[140:141], v[162:163], v[140:141]
	v_pk_mul_f32 v[162:163], v[104:105], s[46:47]
	v_pk_fma_f32 v[180:181], v[84:85], s[28:29], v[164:165] neg_lo:[1,0,0] neg_hi:[1,0,0]
	v_pk_fma_f32 v[174:175], v[82:83], s[26:27], v[162:163]
	v_pk_fma_f32 v[176:177], v[82:83], s[26:27], v[162:163] neg_lo:[1,0,0] neg_hi:[1,0,0]
	v_pk_mul_f32 v[166:167], v[100:101], s[38:39]
	v_mov_b32_e32 v176, v174
	v_pk_add_f32 v[176:177], v[22:23], v[176:177]
	v_mov_b32_e32 v180, v178
	v_pk_add_f32 v[176:177], v[180:181], v[176:177]
	v_pk_fma_f32 v[180:181], v[86:87], s[2:3], v[166:167]
	v_pk_fma_f32 v[182:183], v[86:87], s[2:3], v[166:167] neg_lo:[1,0,0] neg_hi:[1,0,0]
	v_pk_mul_f32 v[168:169], v[98:99], s[50:51]
	v_mov_b32_e32 v182, v180
	v_pk_add_f32 v[176:177], v[182:183], v[176:177]
	v_pk_fma_f32 v[182:183], v[88:89], s[44:45], v[168:169]
	v_pk_fma_f32 v[184:185], v[88:89], s[44:45], v[168:169] neg_lo:[1,0,0] neg_hi:[1,0,0]
	v_pk_mul_f32 v[170:171], v[96:97], s[40:41]
	;; [unrolled: 5-line block ×4, first 2 shown]
	v_mov_b32_e32 v188, v186
	v_pk_add_f32 v[176:177], v[188:189], v[176:177]
	ds_write2_b64 v131, v[140:141], v[176:177] offset0:4 offset1:5
	v_pk_fma_f32 v[140:141], v[82:83], s[14:15], v[104:105]
	v_pk_fma_f32 v[176:177], v[82:83], s[14:15], v[104:105] neg_lo:[1,0,0] neg_hi:[1,0,0]
	v_pk_mul_f32 v[102:103], v[102:103], s[40:41]
	v_mov_b32_e32 v176, v140
	v_pk_fma_f32 v[188:189], v[84:85], s[18:19], v[102:103]
	v_pk_fma_f32 v[190:191], v[84:85], s[18:19], v[102:103] neg_lo:[1,0,0] neg_hi:[1,0,0]
	v_pk_add_f32 v[176:177], v[22:23], v[176:177]
	v_mov_b32_e32 v190, v188
	v_pk_mul_f32 v[100:101], v[100:101], s[46:47]
	v_pk_add_f32 v[176:177], v[190:191], v[176:177]
	v_pk_fma_f32 v[190:191], v[86:87], s[26:27], v[100:101]
	v_pk_fma_f32 v[192:193], v[86:87], s[26:27], v[100:101] neg_lo:[1,0,0] neg_hi:[1,0,0]
	v_pk_mul_f32 v[98:99], v[98:99], s[52:53]
	v_mov_b32_e32 v192, v190
	v_pk_fma_f32 v[104:105], v[82:83], s[14:15], v[104:105] neg_lo:[0,0,1] neg_hi:[0,0,1]
	v_pk_add_f32 v[176:177], v[192:193], v[176:177]
	v_pk_fma_f32 v[192:193], v[88:89], s[48:49], v[98:99]
	v_pk_fma_f32 v[194:195], v[88:89], s[48:49], v[98:99] neg_lo:[1,0,0] neg_hi:[1,0,0]
	v_mov_b32_e32 v105, v141
	v_pk_fma_f32 v[102:103], v[84:85], s[18:19], v[102:103] neg_lo:[0,0,1] neg_hi:[0,0,1]
	v_mov_b32_e32 v194, v192
	v_pk_mul_f32 v[96:97], v[96:97], s[30:31]
	v_pk_add_f32 v[104:105], v[22:23], v[104:105]
	v_mov_b32_e32 v103, v189
	v_pk_fma_f32 v[100:101], v[86:87], s[26:27], v[100:101] neg_lo:[0,0,1] neg_hi:[0,0,1]
	v_pk_add_f32 v[176:177], v[194:195], v[176:177]
	v_pk_fma_f32 v[194:195], v[90:91], s[10:11], v[96:97]
	v_pk_fma_f32 v[196:197], v[90:91], s[10:11], v[96:97] neg_lo:[1,0,0] neg_hi:[1,0,0]
	v_pk_add_f32 v[102:103], v[102:103], v[104:105]
	v_mov_b32_e32 v101, v191
	v_pk_fma_f32 v[98:99], v[88:89], s[48:49], v[98:99] neg_lo:[0,0,1] neg_hi:[0,0,1]
	v_mov_b32_e32 v196, v194
	v_pk_mul_f32 v[94:95], v[94:95], s[34:35]
	v_pk_add_f32 v[100:101], v[100:101], v[102:103]
	v_mov_b32_e32 v99, v193
	v_pk_fma_f32 v[96:97], v[90:91], s[10:11], v[96:97] neg_lo:[0,0,1] neg_hi:[0,0,1]
	v_pk_add_f32 v[176:177], v[196:197], v[176:177]
	v_pk_fma_f32 v[196:197], v[92:93], s[28:29], v[94:95]
	v_pk_fma_f32 v[198:199], v[92:93], s[28:29], v[94:95] neg_lo:[1,0,0] neg_hi:[1,0,0]
	v_pk_add_f32 v[98:99], v[98:99], v[100:101]
	v_mov_b32_e32 v97, v195
	v_pk_fma_f32 v[94:95], v[92:93], s[28:29], v[94:95] neg_lo:[0,0,1] neg_hi:[0,0,1]
	v_mov_b32_e32 v198, v196
	v_pk_add_f32 v[96:97], v[96:97], v[98:99]
	v_mov_b32_e32 v95, v197
	v_pk_add_f32 v[176:177], v[198:199], v[176:177]
	v_pk_add_f32 v[94:95], v[94:95], v[96:97]
	ds_write2_b64 v131, v[176:177], v[94:95] offset0:6 offset1:7
	v_pk_fma_f32 v[94:95], v[82:83], s[26:27], v[162:163] neg_lo:[0,0,1] neg_hi:[0,0,1]
	v_pk_fma_f32 v[96:97], v[84:85], s[28:29], v[164:165] neg_lo:[0,0,1] neg_hi:[0,0,1]
	v_mov_b32_e32 v95, v175
	v_pk_add_f32 v[94:95], v[22:23], v[94:95]
	v_mov_b32_e32 v97, v179
	v_pk_add_f32 v[94:95], v[96:97], v[94:95]
	v_pk_fma_f32 v[96:97], v[86:87], s[2:3], v[166:167] neg_lo:[0,0,1] neg_hi:[0,0,1]
	v_pk_fma_f32 v[98:99], v[84:85], s[20:21], v[142:143] neg_lo:[0,0,1] neg_hi:[0,0,1]
	v_mov_b32_e32 v97, v181
	v_pk_add_f32 v[94:95], v[96:97], v[94:95]
	v_pk_fma_f32 v[96:97], v[88:89], s[44:45], v[168:169] neg_lo:[0,0,1] neg_hi:[0,0,1]
	v_mov_b32_e32 v99, v145
	v_mov_b32_e32 v97, v183
	v_pk_add_f32 v[94:95], v[96:97], v[94:95]
	v_pk_fma_f32 v[96:97], v[90:91], s[18:19], v[170:171] neg_lo:[0,0,1] neg_hi:[0,0,1]
	v_pk_fma_f32 v[26:27], v[82:83], s[22:23], v[26:27] neg_lo:[0,0,1] neg_hi:[0,0,1]
	v_mov_b32_e32 v97, v185
	v_pk_add_f32 v[94:95], v[96:97], v[94:95]
	v_pk_fma_f32 v[96:97], v[92:93], s[10:11], v[172:173] neg_lo:[0,0,1] neg_hi:[0,0,1]
	v_mov_b32_e32 v27, v25
	v_mov_b32_e32 v97, v187
	v_pk_add_f32 v[94:95], v[96:97], v[94:95]
	v_pk_fma_f32 v[96:97], v[82:83], s[10:11], v[118:119] neg_lo:[0,0,1] neg_hi:[0,0,1]
	v_pk_fma_f32 v[24:25], v[84:85], s[2:3], v[30:31] neg_lo:[0,0,1] neg_hi:[0,0,1]
	v_mov_b32_e32 v97, v123
	v_pk_add_f32 v[96:97], v[22:23], v[96:97]
	v_mov_b32_e32 v25, v29
	v_pk_add_f32 v[96:97], v[98:99], v[96:97]
	v_pk_fma_f32 v[98:99], v[86:87], s[18:19], v[146:147] neg_lo:[0,0,1] neg_hi:[0,0,1]
	s_nop 0
	v_mov_b32_e32 v99, v149
	v_pk_add_f32 v[96:97], v[98:99], v[96:97]
	v_pk_fma_f32 v[98:99], v[88:89], s[24:25], v[150:151] neg_lo:[0,0,1] neg_hi:[0,0,1]
	s_nop 0
	;; [unrolled: 4-line block ×4, first 2 shown]
	v_mov_b32_e32 v99, v161
	v_pk_add_f32 v[96:97], v[98:99], v[96:97]
	ds_write2_b64 v131, v[94:95], v[96:97] offset0:8 offset1:9
	v_pk_fma_f32 v[94:95], v[82:83], s[24:25], v[116:117] neg_lo:[0,0,1] neg_hi:[0,0,1]
	v_pk_fma_f32 v[96:97], v[84:85], s[14:15], v[112:113] neg_lo:[0,0,1] neg_hi:[0,0,1]
	v_mov_b32_e32 v95, v121
	v_pk_add_f32 v[94:95], v[22:23], v[94:95]
	v_mov_b32_e32 v97, v125
	v_pk_add_f32 v[22:23], v[22:23], v[26:27]
	v_pk_add_f32 v[94:95], v[96:97], v[94:95]
	v_pk_fma_f32 v[96:97], v[86:87], s[42:43], v[114:115] neg_lo:[0,0,1] neg_hi:[0,0,1]
	v_pk_add_f32 v[22:23], v[24:25], v[22:23]
	v_pk_fma_f32 v[24:25], v[86:87], s[24:25], v[34:35] neg_lo:[0,0,1] neg_hi:[0,0,1]
	v_mov_b32_e32 v97, v127
	v_mov_b32_e32 v25, v33
	v_pk_add_f32 v[94:95], v[96:97], v[94:95]
	v_pk_fma_f32 v[96:97], v[88:89], s[18:19], v[110:111] neg_lo:[0,0,1] neg_hi:[0,0,1]
	v_pk_add_f32 v[22:23], v[24:25], v[22:23]
	v_pk_fma_f32 v[24:25], v[88:89], s[10:11], v[38:39] neg_lo:[0,0,1] neg_hi:[0,0,1]
	v_mov_b32_e32 v97, v129
	v_mov_b32_e32 v25, v37
	;; [unrolled: 6-line block ×4, first 2 shown]
	v_pk_add_f32 v[94:95], v[96:97], v[94:95]
	v_pk_add_f32 v[22:23], v[24:25], v[22:23]
	ds_write2_b64 v131, v[94:95], v[20:21] offset0:10 offset1:11
	ds_write_b64 v131, v[22:23] offset:96
.LBB0_17:
	s_or_b64 exec, exec, s[16:17]
	s_waitcnt lgkmcnt(0)
	; wave barrier
	s_waitcnt lgkmcnt(0)
	ds_read2_b64 v[32:35], v132 offset0:52 offset1:78
	ds_read2_b64 v[22:25], v132 offset1:26
	ds_read2_b64 v[36:39], v132 offset0:104 offset1:130
	ds_read2_b64 v[40:43], v132 offset0:156 offset1:182
	;; [unrolled: 1-line block ×3, first 2 shown]
	ds_read_b64 v[44:45], v132 offset:2080
	s_waitcnt lgkmcnt(5)
	v_pk_mul_f32 v[2:3], v[2:3], v[32:33]
	s_mov_b32 s15, 0x3ed4b147
	v_pk_fma_f32 v[50:51], v[80:81], v[32:33], v[2:3] op_sel:[0,0,1] op_sel_hi:[1,1,0]
	v_pk_fma_f32 v[32:33], v[80:81], v[32:33], v[2:3] op_sel:[0,0,1] op_sel_hi:[1,1,0] neg_lo:[0,0,1] neg_hi:[0,0,1]
	v_pk_mul_f32 v[2:3], v[16:17], v[34:35]
	s_mov_b32 s14, 0xbf68dda4
	v_pk_fma_f32 v[16:17], v[78:79], v[34:35], v[2:3] op_sel:[0,0,1] op_sel_hi:[1,1,0]
	v_pk_fma_f32 v[34:35], v[78:79], v[34:35], v[2:3] op_sel:[0,0,1] op_sel_hi:[1,1,0] neg_lo:[0,0,1] neg_hi:[0,0,1]
	s_waitcnt lgkmcnt(3)
	v_pk_mul_f32 v[2:3], v[18:19], v[36:37]
	s_mov_b32 s2, s15
	v_pk_fma_f32 v[18:19], v[76:77], v[36:37], v[2:3] op_sel:[0,0,1] op_sel_hi:[1,1,0]
	v_pk_fma_f32 v[36:37], v[76:77], v[36:37], v[2:3] op_sel:[0,0,1] op_sel_hi:[1,1,0] neg_lo:[0,0,1] neg_hi:[0,0,1]
	v_pk_mul_f32 v[2:3], v[12:13], v[38:39]
	s_mov_b32 s3, s14
	v_pk_fma_f32 v[12:13], v[66:67], v[38:39], v[2:3] op_sel:[0,0,1] op_sel_hi:[1,1,0]
	v_pk_fma_f32 v[38:39], v[66:67], v[38:39], v[2:3] op_sel:[0,0,1] op_sel_hi:[1,1,0] neg_lo:[0,0,1] neg_hi:[0,0,1]
	s_waitcnt lgkmcnt(2)
	v_pk_mul_f32 v[2:3], v[14:15], v[40:41]
	v_mov_b32_e32 v81, v33
	v_pk_fma_f32 v[14:15], v[64:65], v[40:41], v[2:3] op_sel:[0,0,1] op_sel_hi:[1,1,0]
	v_pk_fma_f32 v[40:41], v[64:65], v[40:41], v[2:3] op_sel:[0,0,1] op_sel_hi:[1,1,0] neg_lo:[0,0,1] neg_hi:[0,0,1]
	v_pk_mul_f32 v[2:3], v[4:5], v[42:43]
	s_mov_b32 s16, 0xbf7d64f0
	v_pk_fma_f32 v[86:87], v[74:75], v[42:43], v[2:3] op_sel:[0,0,1] op_sel_hi:[1,1,0]
	v_pk_fma_f32 v[42:43], v[74:75], v[42:43], v[2:3] op_sel:[0,0,1] op_sel_hi:[1,1,0] neg_lo:[0,0,1] neg_hi:[0,0,1]
	s_waitcnt lgkmcnt(1)
	v_pk_mul_f32 v[2:3], v[6:7], v[82:83]
	v_mov_b32_e32 v80, v50
	v_pk_fma_f32 v[6:7], v[72:73], v[82:83], v[2:3] op_sel:[0,0,1] op_sel_hi:[1,1,0]
	v_pk_fma_f32 v[72:73], v[72:73], v[82:83], v[2:3] op_sel:[0,0,1] op_sel_hi:[1,1,0] neg_lo:[0,0,1] neg_hi:[0,0,1]
	v_pk_mul_f32 v[2:3], v[8:9], v[84:85]
	v_mov_b32_e32 v82, v6
	v_pk_fma_f32 v[4:5], v[70:71], v[84:85], v[2:3] op_sel:[0,0,1] op_sel_hi:[1,1,0]
	v_pk_fma_f32 v[8:9], v[70:71], v[84:85], v[2:3] op_sel:[0,0,1] op_sel_hi:[1,1,0] neg_lo:[0,0,1] neg_hi:[0,0,1]
	s_waitcnt lgkmcnt(0)
	v_pk_mul_f32 v[2:3], v[10:11], v[44:45]
	v_mov_b32_e32 v70, v4
	v_pk_fma_f32 v[10:11], v[68:69], v[44:45], v[2:3] op_sel:[0,0,1] op_sel_hi:[1,1,0]
	v_pk_fma_f32 v[2:3], v[68:69], v[44:45], v[2:3] op_sel:[0,0,1] op_sel_hi:[1,1,0] neg_lo:[0,0,1] neg_hi:[0,0,1]
	s_mov_b32 s17, 0xbe11bafb
	v_mov_b32_e32 v11, v3
	v_pk_add_f32 v[2:3], v[50:51], v[4:5]
	v_pk_add_f32 v[4:5], v[50:51], v[4:5] neg_lo:[0,1] neg_hi:[0,1]
	s_mov_b32 s10, s17
	v_mov_b32_e32 v3, v4
	v_pk_add_f32 v[4:5], v[32:33], v[8:9] neg_lo:[0,1] neg_hi:[0,1]
	v_pk_add_f32 v[32:33], v[32:33], v[8:9]
	v_pk_mul_f32 v[44:45], v[2:3], s[2:3]
	v_mov_b32_e32 v32, v5
	v_pk_fma_f32 v[50:51], v[4:5], s[14:15], v[44:45] op_sel:[1,0,0] neg_lo:[1,0,0] neg_hi:[1,0,0]
	v_pk_add_f32 v[4:5], v[16:17], v[6:7]
	v_pk_add_f32 v[6:7], v[16:17], v[6:7] neg_lo:[0,1] neg_hi:[0,1]
	s_mov_b32 s11, s16
	v_mov_b32_e32 v5, v6
	v_mov_b32_e32 v78, v16
	;; [unrolled: 1-line block ×3, first 2 shown]
	v_pk_add_f32 v[6:7], v[34:35], v[72:73] neg_lo:[0,1] neg_hi:[0,1]
	v_pk_add_f32 v[16:17], v[34:35], v[72:73]
	v_pk_mul_f32 v[34:35], v[4:5], s[10:11]
	s_mov_b32 s20, 0xbf4178ce
	v_mov_b32_e32 v83, v73
	v_mov_b32_e32 v71, v9
	;; [unrolled: 1-line block ×3, first 2 shown]
	v_pk_fma_f32 v[72:73], v[6:7], s[16:17], v[34:35] op_sel:[1,0,0] neg_lo:[1,0,0] neg_hi:[1,0,0]
	v_pk_add_f32 v[6:7], v[18:19], v[86:87]
	v_pk_add_f32 v[8:9], v[18:19], v[86:87] neg_lo:[0,1] neg_hi:[0,1]
	s_mov_b32 s21, 0xbf27a4f4
	v_mov_b32_e32 v7, v8
	s_mov_b32 s2, s21
	s_mov_b32 s3, s20
	v_mov_b32_e32 v76, v18
	v_mov_b32_e32 v77, v37
	v_pk_add_f32 v[8:9], v[36:37], v[42:43] neg_lo:[0,1] neg_hi:[0,1]
	v_pk_add_f32 v[36:37], v[36:37], v[42:43]
	v_pk_mul_f32 v[18:19], v[6:7], s[2:3]
	s_mov_b32 s22, 0xbe903f40
	v_mov_b32_e32 v66, v12
	v_mov_b32_e32 v75, v43
	;; [unrolled: 1-line block ×3, first 2 shown]
	v_pk_fma_f32 v[42:43], v[8:9], s[20:21], v[18:19] op_sel:[1,0,0] neg_lo:[1,0,0] neg_hi:[1,0,0]
	v_pk_add_f32 v[8:9], v[12:13], v[14:15]
	v_pk_add_f32 v[12:13], v[12:13], v[14:15] neg_lo:[0,1] neg_hi:[0,1]
	s_mov_b32 s23, 0xbf75a155
	v_mov_b32_e32 v64, v14
	v_mov_b32_e32 v9, v12
	v_pk_add_f32 v[12:13], v[38:39], v[40:41] neg_lo:[0,1] neg_hi:[0,1]
	v_pk_add_f32 v[14:15], v[38:39], v[40:41]
	s_mov_b32 s18, s23
	s_mov_b32 s19, s22
	v_mov_b32_e32 v67, v39
	v_mov_b32_e32 v74, v86
	v_pk_fma_f32 v[86:87], v[36:37], s[20:21], v[18:19]
	v_mov_b32_e32 v14, v13
	v_pk_mul_f32 v[38:39], v[8:9], s[18:19]
	v_pk_fma_f32 v[18:19], v[36:37], s[20:21], v[18:19] neg_lo:[0,0,1] neg_hi:[0,0,1]
	v_mov_b32_e32 v65, v41
	v_mov_b32_e32 v43, v87
	v_pk_fma_f32 v[12:13], v[12:13], s[22:23], v[38:39] op_sel:[1,0,0] neg_lo:[1,0,0] neg_hi:[1,0,0]
	v_pk_fma_f32 v[40:41], v[14:15], s[22:23], v[38:39]
	v_mov_b32_e32 v87, v19
	v_pk_fma_f32 v[18:19], v[14:15], s[22:23], v[38:39] neg_lo:[0,0,1] neg_hi:[0,0,1]
	v_pk_fma_f32 v[84:85], v[16:17], s[16:17], v[34:35]
	v_mov_b32_e32 v13, v41
	v_pk_fma_f32 v[34:35], v[16:17], s[16:17], v[34:35] neg_lo:[0,0,1] neg_hi:[0,0,1]
	v_mov_b32_e32 v41, v19
	v_pk_mul_f32 v[18:19], v[0:1], v[24:25] op_sel:[1,0]
	v_mov_b32_e32 v73, v85
	v_mov_b32_e32 v85, v35
	v_pk_fma_f32 v[34:35], v[0:1], v[24:25], v[18:19] op_sel:[0,0,1] op_sel_hi:[1,1,0]
	v_pk_fma_f32 v[0:1], v[0:1], v[24:25], v[18:19] op_sel:[0,0,1] op_sel_hi:[0,1,0] neg_lo:[0,0,1] neg_hi:[0,0,1]
	v_mov_b32_e32 v35, v1
	v_pk_add_f32 v[0:1], v[34:35], v[10:11]
	v_pk_add_f32 v[24:25], v[34:35], v[10:11] neg_lo:[0,1] neg_hi:[0,1]
	v_pk_add_f32 v[34:35], v[22:23], v[34:35]
	s_mov_b32 s36, 0xbf0a6770
	v_pk_add_f32 v[34:35], v[34:35], v[80:81]
	v_pk_fma_f32 v[68:69], v[32:33], s[14:15], v[44:45]
	v_pk_add_f32 v[34:35], v[34:35], v[78:79]
	v_pk_fma_f32 v[44:45], v[32:33], s[14:15], v[44:45] neg_lo:[0,0,1] neg_hi:[0,0,1]
	v_pk_add_f32 v[34:35], v[34:35], v[76:77]
	s_mov_b32 s24, s15
	v_pk_add_f32 v[34:35], v[34:35], v[66:67]
	v_pk_mul_f32 v[18:19], v[24:25], s[14:15] op_sel_hi:[1,0]
	v_pk_add_f32 v[34:35], v[34:35], v[64:65]
	s_mov_b32 s37, 0x3f575c64
	v_pk_add_f32 v[34:35], v[34:35], v[74:75]
	v_mov_b32_e32 v51, v69
	v_pk_add_f32 v[34:35], v[34:35], v[82:83]
	v_mov_b32_e32 v69, v45
	v_pk_fma_f32 v[38:39], v[0:1], s[24:25], v[18:19] op_sel:[0,0,1] op_sel_hi:[1,0,0]
	v_pk_fma_f32 v[44:45], v[0:1], s[24:25], v[18:19] op_sel:[0,0,1] op_sel_hi:[1,0,0] neg_lo:[0,0,1] neg_hi:[0,0,1]
	v_pk_add_f32 v[34:35], v[34:35], v[70:71]
	v_mov_b32_e32 v64, v0
	v_mov_b32_e32 v65, v24
	s_mov_b32 s24, s37
	s_mov_b32 s25, s36
	v_pk_add_f32 v[10:11], v[34:35], v[10:11]
	v_mov_b32_e32 v34, v25
	v_mov_b32_e32 v35, v1
	v_pk_mul_f32 v[64:65], v[64:65], s[24:25]
	v_mov_b32_e32 v18, v38
	v_pk_fma_f32 v[66:67], v[34:35], s[36:37], v[64:65] neg_lo:[1,0,0] neg_hi:[1,0,0]
	v_pk_fma_f32 v[70:71], v[34:35], s[36:37], v[64:65]
	v_mov_b32_e32 v19, v45
	v_mov_b32_e32 v67, v71
	v_pk_add_f32 v[66:67], v[22:23], v[66:67]
	s_mov_b32 s34, 0x3e903f40
	v_pk_add_f32 v[50:51], v[50:51], v[66:67]
	v_pk_mul_f32 v[66:67], v[32:33], s[20:21]
	s_mov_b32 s35, s23
	v_pk_fma_f32 v[74:75], v[2:3], s[2:3], v[66:67]
	v_pk_fma_f32 v[76:77], v[2:3], s[2:3], v[66:67] neg_lo:[1,0,0] neg_hi:[1,0,0]
	v_pk_fma_f32 v[34:35], v[34:35], s[36:37], v[64:65] neg_lo:[0,0,1] neg_hi:[0,0,1]
	v_pk_add_f32 v[18:19], v[22:23], v[18:19]
	v_mov_b32_e32 v76, v74
	v_pk_add_f32 v[50:51], v[72:73], v[50:51]
	v_pk_mul_f32 v[72:73], v[16:17], s[34:35]
	s_mov_b32 s26, s23
	s_mov_b32 s27, s34
	v_mov_b32_e32 v71, v35
	v_pk_add_f32 v[18:19], v[76:77], v[18:19]
	v_pk_fma_f32 v[76:77], v[4:5], s[26:27], v[72:73]
	v_pk_fma_f32 v[78:79], v[4:5], s[26:27], v[72:73] neg_lo:[1,0,0] neg_hi:[1,0,0]
	s_mov_b32 s38, 0x3f7d64f0
	s_mov_b32 s39, s17
	v_pk_add_f32 v[34:35], v[22:23], v[70:71]
	v_mov_b32_e32 v78, v76
	v_pk_add_f32 v[42:43], v[42:43], v[50:51]
	v_pk_mul_f32 v[50:51], v[36:37], s[38:39]
	s_mov_b32 s28, s17
	s_mov_b32 s29, s38
	v_pk_add_f32 v[34:35], v[68:69], v[34:35]
	v_pk_add_f32 v[18:19], v[78:79], v[18:19]
	v_pk_fma_f32 v[78:79], v[6:7], s[28:29], v[50:51]
	v_pk_fma_f32 v[80:81], v[6:7], s[28:29], v[50:51] neg_lo:[1,0,0] neg_hi:[1,0,0]
	v_pk_add_f32 v[34:35], v[84:85], v[34:35]
	v_mov_b32_e32 v80, v78
	s_mov_b32 s40, 0x3f0a6770
	s_mov_b32 s41, s37
	v_pk_add_f32 v[34:35], v[86:87], v[34:35]
	v_pk_add_f32 v[80:81], v[80:81], v[18:19]
	;; [unrolled: 1-line block ×3, first 2 shown]
	v_pk_mul_f32 v[12:13], v[14:15], s[40:41]
	s_mov_b32 s30, s37
	s_mov_b32 s31, s40
	v_pk_add_f32 v[34:35], v[40:41], v[34:35]
	s_mov_b32 s42, s17
	v_pk_mul_f32 v[94:95], v[24:25], s[16:17] op_sel_hi:[1,0]
	v_pk_fma_f32 v[42:43], v[8:9], s[30:31], v[12:13]
	v_pk_fma_f32 v[82:83], v[8:9], s[30:31], v[12:13] neg_lo:[1,0,0] neg_hi:[1,0,0]
	s_waitcnt lgkmcnt(0)
	; wave barrier
	ds_write2_b64 v133, v[10:11], v[34:35] offset1:13
	v_pk_mul_f32 v[10:11], v[32:33], s[34:35]
	s_mov_b32 s14, 0x3f68dda4
	v_pk_fma_f32 v[96:97], v[0:1], s[42:43], v[94:95] op_sel:[0,0,1] op_sel_hi:[1,0,0]
	v_pk_fma_f32 v[94:95], v[0:1], s[42:43], v[94:95] op_sel:[0,0,1] op_sel_hi:[1,0,0] neg_lo:[0,0,1] neg_hi:[0,0,1]
	v_mov_b32_e32 v82, v42
	v_pk_fma_f32 v[34:35], v[2:3], s[26:27], v[10:11]
	v_pk_fma_f32 v[40:41], v[2:3], s[26:27], v[10:11] neg_lo:[1,0,0] neg_hi:[1,0,0]
	v_pk_mul_f32 v[64:65], v[16:17], s[14:15]
	s_mov_b32 s34, s15
	s_mov_b32 s35, s14
	v_mov_b32_e32 v98, v96
	v_mov_b32_e32 v99, v95
	v_pk_add_f32 v[80:81], v[82:83], v[80:81]
	v_mov_b32_e32 v40, v34
	v_pk_fma_f32 v[68:69], v[4:5], s[34:35], v[64:65]
	v_pk_fma_f32 v[70:71], v[4:5], s[34:35], v[64:65] neg_lo:[1,0,0] neg_hi:[1,0,0]
	v_pk_mul_f32 v[82:83], v[36:37], s[36:37]
	v_pk_add_f32 v[98:99], v[22:23], v[98:99]
	v_mov_b32_e32 v70, v68
	v_pk_fma_f32 v[84:85], v[6:7], s[24:25], v[82:83]
	v_pk_fma_f32 v[86:87], v[6:7], s[24:25], v[82:83] neg_lo:[1,0,0] neg_hi:[1,0,0]
	v_pk_mul_f32 v[88:89], v[14:15], s[20:21]
	v_pk_add_f32 v[40:41], v[40:41], v[98:99]
	v_mov_b32_e32 v86, v84
	v_pk_fma_f32 v[90:91], v[8:9], s[2:3], v[88:89]
	v_pk_fma_f32 v[92:93], v[8:9], s[2:3], v[88:89] neg_lo:[1,0,0] neg_hi:[1,0,0]
	v_pk_add_f32 v[40:41], v[70:71], v[40:41]
	v_mov_b32_e32 v92, v90
	v_pk_add_f32 v[40:41], v[86:87], v[40:41]
	v_pk_mul_f32 v[86:87], v[16:17], s[36:37]
	v_pk_add_f32 v[40:41], v[92:93], v[40:41]
	s_mov_b32 s36, s21
	v_pk_mul_f32 v[112:113], v[24:25], s[20:21] op_sel_hi:[1,0]
	ds_write2_b64 v133, v[80:81], v[40:41] offset0:26 offset1:39
	v_pk_mul_f32 v[40:41], v[32:33], s[38:39]
	v_pk_fma_f32 v[114:115], v[0:1], s[36:37], v[112:113] op_sel:[0,0,1] op_sel_hi:[1,0,0]
	v_pk_fma_f32 v[112:113], v[0:1], s[36:37], v[112:113] op_sel:[0,0,1] op_sel_hi:[1,0,0] neg_lo:[0,0,1] neg_hi:[0,0,1]
	v_pk_fma_f32 v[70:71], v[2:3], s[28:29], v[40:41]
	v_pk_fma_f32 v[80:81], v[2:3], s[28:29], v[40:41] neg_lo:[1,0,0] neg_hi:[1,0,0]
	v_mov_b32_e32 v116, v114
	v_mov_b32_e32 v117, v113
	;; [unrolled: 1-line block ×3, first 2 shown]
	v_pk_fma_f32 v[92:93], v[4:5], s[24:25], v[86:87]
	v_pk_fma_f32 v[98:99], v[4:5], s[24:25], v[86:87] neg_lo:[1,0,0] neg_hi:[1,0,0]
	v_pk_mul_f32 v[100:101], v[36:37], s[22:23]
	v_pk_add_f32 v[116:117], v[22:23], v[116:117]
	v_mov_b32_e32 v98, v92
	v_pk_fma_f32 v[102:103], v[6:7], s[18:19], v[100:101]
	v_pk_fma_f32 v[104:105], v[6:7], s[18:19], v[100:101] neg_lo:[1,0,0] neg_hi:[1,0,0]
	v_pk_mul_f32 v[106:107], v[14:15], s[14:15]
	v_pk_add_f32 v[80:81], v[80:81], v[116:117]
	v_pk_mul_f32 v[36:37], v[36:37], s[14:15]
	s_mov_b32 s14, s23
	v_pk_mul_f32 v[24:25], v[24:25], s[22:23] op_sel_hi:[1,0]
	v_mov_b32_e32 v104, v102
	v_pk_fma_f32 v[108:109], v[8:9], s[34:35], v[106:107]
	v_pk_fma_f32 v[110:111], v[8:9], s[34:35], v[106:107] neg_lo:[1,0,0] neg_hi:[1,0,0]
	v_pk_add_f32 v[80:81], v[98:99], v[80:81]
	v_pk_mul_f32 v[32:33], v[32:33], s[40:41]
	v_pk_fma_f32 v[126:127], v[0:1], s[14:15], v[24:25] op_sel:[0,0,1] op_sel_hi:[1,0,0]
	v_pk_fma_f32 v[0:1], v[0:1], s[14:15], v[24:25] op_sel:[0,0,1] op_sel_hi:[1,0,0] neg_lo:[0,0,1] neg_hi:[0,0,1]
	v_mov_b32_e32 v110, v108
	v_pk_add_f32 v[80:81], v[104:105], v[80:81]
	v_pk_fma_f32 v[98:99], v[2:3], s[30:31], v[32:33]
	v_pk_fma_f32 v[104:105], v[2:3], s[30:31], v[32:33] neg_lo:[1,0,0] neg_hi:[1,0,0]
	v_pk_mul_f32 v[16:17], v[16:17], s[20:21]
	v_mov_b32_e32 v24, v126
	v_mov_b32_e32 v25, v1
	v_pk_add_f32 v[80:81], v[110:111], v[80:81]
	v_mov_b32_e32 v104, v98
	v_pk_fma_f32 v[110:111], v[4:5], s[2:3], v[16:17]
	v_pk_fma_f32 v[116:117], v[4:5], s[2:3], v[16:17] neg_lo:[1,0,0] neg_hi:[1,0,0]
	v_pk_add_f32 v[24:25], v[22:23], v[24:25]
	v_mov_b32_e32 v116, v110
	v_pk_fma_f32 v[118:119], v[6:7], s[34:35], v[36:37]
	v_pk_fma_f32 v[120:121], v[6:7], s[34:35], v[36:37] neg_lo:[1,0,0] neg_hi:[1,0,0]
	v_pk_mul_f32 v[14:15], v[14:15], s[16:17]
	v_pk_add_f32 v[24:25], v[104:105], v[24:25]
	v_mov_b32_e32 v120, v118
	v_pk_fma_f32 v[122:123], v[8:9], s[10:11], v[14:15]
	v_pk_fma_f32 v[124:125], v[8:9], s[10:11], v[14:15] neg_lo:[1,0,0] neg_hi:[1,0,0]
	v_pk_add_f32 v[24:25], v[116:117], v[24:25]
	v_mov_b32_e32 v124, v122
	v_pk_add_f32 v[24:25], v[120:121], v[24:25]
	v_mov_b32_e32 v1, v127
	v_pk_add_f32 v[24:25], v[124:125], v[24:25]
	ds_write2_b64 v133, v[80:81], v[24:25] offset0:52 offset1:65
	v_pk_fma_f32 v[24:25], v[2:3], s[30:31], v[32:33] neg_lo:[0,0,1] neg_hi:[0,0,1]
	v_pk_fma_f32 v[16:17], v[4:5], s[2:3], v[16:17] neg_lo:[0,0,1] neg_hi:[0,0,1]
	v_mov_b32_e32 v25, v99
	v_pk_add_f32 v[0:1], v[22:23], v[0:1]
	v_mov_b32_e32 v17, v111
	v_pk_fma_f32 v[32:33], v[6:7], s[34:35], v[36:37] neg_lo:[0,0,1] neg_hi:[0,0,1]
	v_pk_add_f32 v[0:1], v[24:25], v[0:1]
	v_mov_b32_e32 v33, v119
	v_pk_fma_f32 v[14:15], v[8:9], s[10:11], v[14:15] neg_lo:[0,0,1] neg_hi:[0,0,1]
	v_pk_add_f32 v[0:1], v[16:17], v[0:1]
	v_mov_b32_e32 v15, v123
	v_pk_add_f32 v[0:1], v[32:33], v[0:1]
	v_mov_b32_e32 v113, v115
	v_pk_add_f32 v[0:1], v[14:15], v[0:1]
	v_pk_fma_f32 v[14:15], v[2:3], s[28:29], v[40:41] neg_lo:[0,0,1] neg_hi:[0,0,1]
	v_pk_fma_f32 v[16:17], v[4:5], s[24:25], v[86:87] neg_lo:[0,0,1] neg_hi:[0,0,1]
	v_mov_b32_e32 v15, v71
	v_pk_add_f32 v[36:37], v[22:23], v[112:113]
	v_mov_b32_e32 v17, v93
	v_pk_fma_f32 v[24:25], v[6:7], s[18:19], v[100:101] neg_lo:[0,0,1] neg_hi:[0,0,1]
	v_pk_add_f32 v[14:15], v[14:15], v[36:37]
	v_mov_b32_e32 v25, v103
	v_pk_fma_f32 v[32:33], v[8:9], s[34:35], v[106:107] neg_lo:[0,0,1] neg_hi:[0,0,1]
	v_pk_add_f32 v[14:15], v[16:17], v[14:15]
	v_mov_b32_e32 v33, v109
	v_pk_add_f32 v[14:15], v[24:25], v[14:15]
	v_mov_b32_e32 v95, v97
	v_pk_add_f32 v[14:15], v[32:33], v[14:15]
	ds_write2_b64 v133, v[0:1], v[14:15] offset0:78 offset1:91
	v_pk_fma_f32 v[0:1], v[2:3], s[26:27], v[10:11] neg_lo:[0,0,1] neg_hi:[0,0,1]
	v_pk_fma_f32 v[10:11], v[4:5], s[34:35], v[64:65] neg_lo:[0,0,1] neg_hi:[0,0,1]
	v_mov_b32_e32 v1, v35
	v_pk_add_f32 v[24:25], v[22:23], v[94:95]
	v_mov_b32_e32 v11, v69
	v_pk_add_f32 v[0:1], v[0:1], v[24:25]
	v_mov_b32_e32 v45, v39
	v_pk_fma_f32 v[2:3], v[2:3], s[2:3], v[66:67] neg_lo:[0,0,1] neg_hi:[0,0,1]
	v_pk_add_f32 v[0:1], v[10:11], v[0:1]
	v_pk_add_f32 v[10:11], v[22:23], v[44:45]
	v_mov_b32_e32 v3, v75
	v_pk_fma_f32 v[4:5], v[4:5], s[26:27], v[72:73] neg_lo:[0,0,1] neg_hi:[0,0,1]
	v_pk_add_f32 v[2:3], v[2:3], v[10:11]
	v_mov_b32_e32 v5, v77
	v_pk_add_f32 v[2:3], v[4:5], v[2:3]
	v_pk_fma_f32 v[4:5], v[6:7], s[28:29], v[50:51] neg_lo:[0,0,1] neg_hi:[0,0,1]
	v_pk_fma_f32 v[14:15], v[6:7], s[24:25], v[82:83] neg_lo:[0,0,1] neg_hi:[0,0,1]
	v_mov_b32_e32 v5, v79
	v_mov_b32_e32 v15, v85
	v_pk_fma_f32 v[16:17], v[8:9], s[2:3], v[88:89] neg_lo:[0,0,1] neg_hi:[0,0,1]
	v_pk_add_f32 v[2:3], v[4:5], v[2:3]
	v_pk_fma_f32 v[4:5], v[8:9], s[30:31], v[12:13] neg_lo:[0,0,1] neg_hi:[0,0,1]
	v_mov_b32_e32 v17, v91
	v_pk_add_f32 v[0:1], v[14:15], v[0:1]
	v_mov_b32_e32 v5, v43
	v_pk_add_f32 v[0:1], v[16:17], v[0:1]
	v_pk_add_f32 v[2:3], v[4:5], v[2:3]
	ds_write2_b64 v133, v[0:1], v[2:3] offset0:104 offset1:117
	ds_write_b64 v133, v[18:19] offset:1040
	s_waitcnt lgkmcnt(0)
	; wave barrier
	s_waitcnt lgkmcnt(0)
	ds_read2_b64 v[22:25], v132 offset1:26
	ds_read2_b64 v[0:3], v132 offset0:104 offset1:143
	ds_read2_b64 v[12:15], v132 offset0:169 offset1:195
	;; [unrolled: 1-line block ×4, first 2 shown]
	v_mov_b32_e32 v30, v58
	v_mov_b32_e32 v31, v58
	;; [unrolled: 1-line block ×12, first 2 shown]
	v_add_u32_e32 v32, 0x340, v134
	s_and_saveexec_b64 s[2:3], s[0:1]
	s_cbranch_execz .LBB0_19
; %bb.18:
	v_add_u32_e32 v18, 0x400, v132
	ds_read2_b64 v[18:21], v18 offset0:2 offset1:145
.LBB0_19:
	s_or_b64 exec, exec, s[2:3]
	s_waitcnt lgkmcnt(3)
	v_pk_mul_f32 v[34:35], v[58:59], v[2:3]
	s_waitcnt lgkmcnt(2)
	v_pk_mul_f32 v[36:37], v[56:57], v[12:13]
	v_pk_fma_f32 v[44:45], v[30:31], v[2:3], v[34:35] op_sel:[0,0,1] op_sel_hi:[1,1,0]
	v_pk_fma_f32 v[2:3], v[30:31], v[2:3], v[34:35] op_sel:[0,0,1] op_sel_hi:[1,1,0] neg_lo:[0,0,1] neg_hi:[0,0,1]
	v_pk_fma_f32 v[30:31], v[28:29], v[12:13], v[36:37] op_sel:[0,0,1] op_sel_hi:[1,1,0]
	v_pk_fma_f32 v[12:13], v[28:29], v[12:13], v[36:37] op_sel:[0,0,1] op_sel_hi:[1,1,0] neg_lo:[0,0,1] neg_hi:[0,0,1]
	v_mov_b32_e32 v45, v3
	v_mov_b32_e32 v31, v13
	v_pk_add_f32 v[2:3], v[22:23], v[44:45] neg_lo:[0,1] neg_hi:[0,1]
	v_pk_add_f32 v[12:13], v[24:25], v[30:31] neg_lo:[0,1] neg_hi:[0,1]
	v_pk_mul_f32 v[38:39], v[54:55], v[14:15] op_sel:[1,0]
	v_pk_fma_f32 v[22:23], v[22:23], 2.0, v[2:3] op_sel_hi:[1,0,1] neg_lo:[0,0,1] neg_hi:[0,0,1]
	v_pk_fma_f32 v[24:25], v[24:25], 2.0, v[12:13] op_sel_hi:[1,0,1] neg_lo:[0,0,1] neg_hi:[0,0,1]
	ds_write2_b64 v47, v[22:23], v[24:25] offset1:26
	v_pk_fma_f32 v[22:23], v[54:55], v[14:15], v[38:39] op_sel:[0,0,1] op_sel_hi:[1,1,0]
	v_pk_fma_f32 v[14:15], v[54:55], v[14:15], v[38:39] op_sel:[0,0,1] op_sel_hi:[0,1,0] neg_lo:[0,0,1] neg_hi:[0,0,1]
	v_mov_b32_e32 v23, v15
	s_waitcnt lgkmcnt(1)
	v_pk_mul_f32 v[40:41], v[62:63], v[4:5]
	v_pk_add_f32 v[14:15], v[8:9], v[22:23] neg_lo:[0,1] neg_hi:[0,1]
	ds_write2_b64 v47, v[12:13], v[14:15] offset0:169 offset1:195
	v_pk_fma_f32 v[12:13], v[26:27], v[4:5], v[40:41] op_sel:[0,0,1] op_sel_hi:[1,1,0]
	v_pk_fma_f32 v[4:5], v[26:27], v[4:5], v[40:41] op_sel:[0,0,1] op_sel_hi:[1,1,0] neg_lo:[0,0,1] neg_hi:[0,0,1]
	v_pk_mul_f32 v[42:43], v[60:61], v[6:7]
	v_mov_b32_e32 v13, v5
	v_pk_add_f32 v[4:5], v[10:11], v[12:13] neg_lo:[0,1] neg_hi:[0,1]
	v_pk_fma_f32 v[8:9], v[8:9], 2.0, v[14:15] op_sel_hi:[1,0,1] neg_lo:[0,0,1] neg_hi:[0,0,1]
	v_pk_fma_f32 v[10:11], v[10:11], 2.0, v[4:5] op_sel_hi:[1,0,1] neg_lo:[0,0,1] neg_hi:[0,0,1]
	ds_write2_b64 v47, v[8:9], v[10:11] offset0:52 offset1:78
	ds_write_b64 v47, v[4:5] offset:1768
	v_pk_fma_f32 v[4:5], v[16:17], v[6:7], v[42:43] op_sel:[0,0,1] op_sel_hi:[1,1,0]
	v_pk_fma_f32 v[6:7], v[16:17], v[6:7], v[42:43] op_sel:[0,0,1] op_sel_hi:[1,1,0] neg_lo:[0,0,1] neg_hi:[0,0,1]
	s_nop 0
	v_mov_b32_e32 v5, v7
	v_pk_add_f32 v[4:5], v[0:1], v[4:5] neg_lo:[0,1] neg_hi:[0,1]
	s_nop 0
	v_pk_fma_f32 v[0:1], v[0:1], 2.0, v[4:5] op_sel_hi:[1,0,1] neg_lo:[0,0,1] neg_hi:[0,0,1]
	ds_write2_b64 v47, v[0:1], v[2:3] offset0:104 offset1:143
	ds_write_b64 v32, v[4:5] offset:1144
	s_and_saveexec_b64 s[2:3], s[0:1]
	s_cbranch_execz .LBB0_21
; %bb.20:
	v_pk_mul_f32 v[0:1], v[52:53], v[20:21] op_sel:[0,1]
	v_add_u32_e32 v4, 0x400, v47
	v_pk_fma_f32 v[2:3], v[52:53], v[20:21], v[0:1] op_sel:[0,0,1] op_sel_hi:[1,1,0]
	v_pk_fma_f32 v[0:1], v[52:53], v[20:21], v[0:1] op_sel:[0,0,1] op_sel_hi:[1,0,0] neg_lo:[1,0,0] neg_hi:[1,0,0]
	s_nop 0
	v_mov_b32_e32 v3, v1
	v_pk_add_f32 v[0:1], v[18:19], v[2:3] neg_lo:[0,1] neg_hi:[0,1]
	s_nop 0
	v_pk_fma_f32 v[2:3], v[18:19], 2.0, v[0:1] op_sel_hi:[1,0,1] neg_lo:[0,0,1] neg_hi:[0,0,1]
	ds_write2_b64 v4, v[2:3], v[0:1] offset0:2 offset1:145
.LBB0_21:
	s_or_b64 exec, exec, s[2:3]
	s_waitcnt lgkmcnt(0)
	; wave barrier
	s_waitcnt lgkmcnt(0)
	s_and_b64 exec, exec, vcc
	s_cbranch_execz .LBB0_23
; %bb.22:
	global_load_dwordx2 v[8:9], v49, s[8:9]
	global_load_dwordx2 v[10:11], v49, s[8:9] offset:176
	global_load_dwordx2 v[12:13], v49, s[8:9] offset:352
	;; [unrolled: 1-line block ×4, first 2 shown]
	ds_read_b64 v[22:23], v47
	global_load_dwordx2 v[26:27], v49, s[8:9] offset:880
	global_load_dwordx2 v[28:29], v49, s[8:9] offset:1056
	;; [unrolled: 1-line block ×3, first 2 shown]
	v_lshl_add_u32 v36, v130, 3, v49
	ds_read2_b64 v[0:3], v36 offset0:22 offset1:44
	ds_read2_b64 v[4:7], v36 offset0:66 offset1:88
	v_mad_u64_u32 v[20:21], s[0:1], s6, v48, 0
	v_mad_u64_u32 v[24:25], s[2:3], s4, v46, 0
	v_mov_b32_e32 v32, v21
	v_mov_b32_e32 v34, v25
	v_mad_u64_u32 v[32:33], s[6:7], s7, v48, v[32:33]
	v_mad_u64_u32 v[34:35], s[6:7], s5, v46, v[34:35]
	v_mov_b32_e32 v25, v34
	v_mov_b32_e32 v16, s12
	;; [unrolled: 1-line block ×4, first 2 shown]
	v_lshl_add_u64 v[16:17], v[20:21], 3, v[16:17]
	v_mov_b32_e32 v37, 0xb0
	v_lshl_add_u64 v[16:17], v[24:25], 3, v[16:17]
	s_mul_i32 s2, s5, 0xb0
	v_mad_u64_u32 v[20:21], s[6:7], s4, v37, v[16:17]
	s_mov_b32 s0, 0x55ee191
	v_add_u32_e32 v21, s2, v21
	s_mov_b32 s1, 0x3f6ca4b3
	v_mad_u64_u32 v[24:25], s[6:7], s4, v37, v[20:21]
	v_add_u32_e32 v25, s2, v25
	v_mad_u64_u32 v[32:33], s[6:7], s4, v37, v[24:25]
	v_add_u32_e32 v33, s2, v33
	s_waitcnt vmcnt(7) lgkmcnt(2)
	v_mul_f32_e32 v34, v23, v9
	s_waitcnt vmcnt(6) lgkmcnt(1)
	v_mul_f32_e32 v35, v1, v11
	v_mul_f32_e32 v9, v22, v9
	;; [unrolled: 1-line block ×3, first 2 shown]
	s_waitcnt vmcnt(4) lgkmcnt(0)
	v_mul_f32_e32 v39, v5, v15
	v_mul_f32_e32 v15, v4, v15
	v_fmac_f32_e32 v34, v22, v8
	v_fmac_f32_e32 v35, v0, v10
	v_fma_f32 v8, v8, v23, -v9
	v_fma_f32 v9, v10, v1, -v11
	v_fmac_f32_e32 v39, v4, v14
	v_fma_f32 v22, v14, v5, -v15
	v_cvt_f64_f32_e32 v[0:1], v34
	v_cvt_f64_f32_e32 v[4:5], v35
	global_load_dwordx2 v[34:35], v49, s[8:9] offset:1408
	v_mul_f32_e32 v38, v3, v13
	v_mul_f32_e32 v13, v2, v13
	v_fmac_f32_e32 v38, v2, v12
	v_fma_f32 v12, v12, v3, -v13
	v_cvt_f64_f32_e32 v[2:3], v8
	v_cvt_f64_f32_e32 v[8:9], v9
	;; [unrolled: 1-line block ×6, first 2 shown]
	v_mul_f64 v[0:1], v[0:1], s[0:1]
	v_mul_f64 v[2:3], v[2:3], s[0:1]
	v_mul_f64 v[4:5], v[4:5], s[0:1]
	v_mul_f64 v[8:9], v[8:9], s[0:1]
	v_mul_f64 v[10:11], v[10:11], s[0:1]
	v_mul_f64 v[12:13], v[12:13], s[0:1]
	v_mul_f64 v[14:15], v[14:15], s[0:1]
	v_mul_f64 v[22:23], v[22:23], s[0:1]
	v_cvt_f32_f64_e32 v0, v[0:1]
	v_cvt_f32_f64_e32 v1, v[2:3]
	;; [unrolled: 1-line block ×5, first 2 shown]
	global_load_dwordx2 v[10:11], v49, s[8:9] offset:1584
	v_cvt_f32_f64_e32 v5, v[12:13]
	v_cvt_f32_f64_e32 v8, v[14:15]
	;; [unrolled: 1-line block ×3, first 2 shown]
	global_store_dwordx2 v[16:17], v[0:1], off
	global_store_dwordx2 v[20:21], v[2:3], off
	;; [unrolled: 1-line block ×4, first 2 shown]
	s_waitcnt vmcnt(9)
	v_mul_f32_e32 v0, v7, v19
	v_fmac_f32_e32 v0, v6, v18
	v_cvt_f64_f32_e32 v[0:1], v0
	v_mul_f64 v[0:1], v[0:1], s[0:1]
	v_cvt_f32_f64_e32 v4, v[0:1]
	v_mul_f32_e32 v0, v6, v19
	v_fma_f32 v0, v18, v7, -v0
	global_load_dwordx2 v[6:7], v49, s[8:9] offset:1760
	global_load_dwordx2 v[12:13], v49, s[8:9] offset:1936
	v_cvt_f64_f32_e32 v[0:1], v0
	v_mul_f64 v[0:1], v[0:1], s[0:1]
	v_cvt_f32_f64_e32 v5, v[0:1]
	ds_read2_b64 v[0:3], v36 offset0:110 offset1:132
	v_mad_u64_u32 v[8:9], s[6:7], s4, v37, v[32:33]
	v_add_u32_e32 v9, s2, v9
	global_store_dwordx2 v[8:9], v[4:5], off
	s_waitcnt vmcnt(11) lgkmcnt(0)
	v_mul_f32_e32 v4, v1, v27
	v_fmac_f32_e32 v4, v0, v26
	v_mul_f32_e32 v0, v0, v27
	v_fma_f32 v0, v26, v1, -v0
	v_cvt_f64_f32_e32 v[4:5], v4
	v_cvt_f64_f32_e32 v[0:1], v0
	v_mul_f64 v[4:5], v[4:5], s[0:1]
	v_mul_f64 v[0:1], v[0:1], s[0:1]
	v_cvt_f32_f64_e32 v4, v[4:5]
	v_cvt_f32_f64_e32 v5, v[0:1]
	s_waitcnt vmcnt(10)
	v_mul_f32_e32 v0, v3, v29
	v_fmac_f32_e32 v0, v2, v28
	v_mad_u64_u32 v[8:9], s[6:7], s4, v37, v[8:9]
	v_cvt_f64_f32_e32 v[0:1], v0
	v_add_u32_e32 v9, s2, v9
	v_mul_f64 v[0:1], v[0:1], s[0:1]
	global_store_dwordx2 v[8:9], v[4:5], off
	v_cvt_f32_f64_e32 v4, v[0:1]
	v_mul_f32_e32 v0, v2, v29
	v_fma_f32 v0, v28, v3, -v0
	v_cvt_f64_f32_e32 v[0:1], v0
	v_mul_f64 v[0:1], v[0:1], s[0:1]
	v_cvt_f32_f64_e32 v5, v[0:1]
	ds_read2_b64 v[0:3], v36 offset0:154 offset1:176
	v_mad_u64_u32 v[8:9], s[6:7], s4, v37, v[8:9]
	v_add_u32_e32 v9, s2, v9
	global_store_dwordx2 v[8:9], v[4:5], off
	s_waitcnt vmcnt(11) lgkmcnt(0)
	v_mul_f32_e32 v4, v1, v31
	v_fmac_f32_e32 v4, v0, v30
	v_mul_f32_e32 v0, v0, v31
	v_fma_f32 v0, v30, v1, -v0
	v_cvt_f64_f32_e32 v[4:5], v4
	v_cvt_f64_f32_e32 v[0:1], v0
	v_mul_f64 v[4:5], v[4:5], s[0:1]
	v_mul_f64 v[0:1], v[0:1], s[0:1]
	v_cvt_f32_f64_e32 v4, v[4:5]
	v_cvt_f32_f64_e32 v5, v[0:1]
	s_waitcnt vmcnt(10)
	v_mul_f32_e32 v0, v3, v35
	v_fmac_f32_e32 v0, v2, v34
	v_mad_u64_u32 v[8:9], s[6:7], s4, v37, v[8:9]
	v_cvt_f64_f32_e32 v[0:1], v0
	v_add_u32_e32 v9, s2, v9
	v_mul_f64 v[0:1], v[0:1], s[0:1]
	global_store_dwordx2 v[8:9], v[4:5], off
	v_cvt_f32_f64_e32 v4, v[0:1]
	v_mul_f32_e32 v0, v2, v35
	v_fma_f32 v0, v34, v3, -v0
	v_cvt_f64_f32_e32 v[0:1], v0
	v_mul_f64 v[0:1], v[0:1], s[0:1]
	v_cvt_f32_f64_e32 v5, v[0:1]
	ds_read2_b64 v[0:3], v36 offset0:198 offset1:220
	v_mad_u64_u32 v[8:9], s[6:7], s4, v37, v[8:9]
	v_add_u32_e32 v9, s2, v9
	global_store_dwordx2 v[8:9], v[4:5], off
	s_waitcnt vmcnt(11) lgkmcnt(0)
	v_mul_f32_e32 v4, v1, v11
	v_fmac_f32_e32 v4, v0, v10
	v_mul_f32_e32 v0, v0, v11
	v_fma_f32 v0, v10, v1, -v0
	v_cvt_f64_f32_e32 v[4:5], v4
	v_cvt_f64_f32_e32 v[0:1], v0
	v_mul_f64 v[4:5], v[4:5], s[0:1]
	v_mul_f64 v[0:1], v[0:1], s[0:1]
	v_cvt_f32_f64_e32 v4, v[4:5]
	v_cvt_f32_f64_e32 v5, v[0:1]
	v_mad_u64_u32 v[8:9], s[6:7], s4, v37, v[8:9]
	s_waitcnt vmcnt(6)
	v_mul_f32_e32 v0, v3, v7
	v_fmac_f32_e32 v0, v2, v6
	v_cvt_f64_f32_e32 v[0:1], v0
	v_add_u32_e32 v9, s2, v9
	v_mul_f64 v[0:1], v[0:1], s[0:1]
	global_store_dwordx2 v[8:9], v[4:5], off
	v_cvt_f32_f64_e32 v4, v[0:1]
	v_mul_f32_e32 v0, v2, v7
	v_fma_f32 v0, v6, v3, -v0
	v_cvt_f64_f32_e32 v[0:1], v0
	v_mul_f64 v[0:1], v[0:1], s[0:1]
	v_cvt_f32_f64_e32 v5, v[0:1]
	v_add_u32_e32 v0, 0x400, v36
	ds_read2_b64 v[0:3], v0 offset0:114 offset1:136
	v_mad_u64_u32 v[6:7], s[6:7], s4, v37, v[8:9]
	v_add_u32_e32 v7, s2, v7
	global_store_dwordx2 v[6:7], v[4:5], off
	s_waitcnt vmcnt(7) lgkmcnt(0)
	v_mul_f32_e32 v4, v1, v13
	v_fmac_f32_e32 v4, v0, v12
	v_mul_f32_e32 v0, v0, v13
	v_fma_f32 v0, v12, v1, -v0
	v_cvt_f64_f32_e32 v[4:5], v4
	v_cvt_f64_f32_e32 v[0:1], v0
	v_mul_f64 v[4:5], v[4:5], s[0:1]
	v_mul_f64 v[0:1], v[0:1], s[0:1]
	v_cvt_f32_f64_e32 v4, v[4:5]
	v_cvt_f32_f64_e32 v5, v[0:1]
	v_mad_u64_u32 v[0:1], s[6:7], s4, v37, v[6:7]
	v_add_u32_e32 v1, s2, v1
	global_store_dwordx2 v[0:1], v[4:5], off
	global_load_dwordx2 v[4:5], v49, s[8:9] offset:2112
	s_waitcnt vmcnt(0)
	v_mul_f32_e32 v6, v3, v5
	v_fmac_f32_e32 v6, v2, v4
	v_mul_f32_e32 v2, v2, v5
	v_fma_f32 v2, v4, v3, -v2
	v_cvt_f64_f32_e32 v[6:7], v6
	v_cvt_f64_f32_e32 v[2:3], v2
	v_mul_f64 v[6:7], v[6:7], s[0:1]
	v_mul_f64 v[2:3], v[2:3], s[0:1]
	v_mad_u64_u32 v[0:1], s[0:1], s4, v37, v[0:1]
	v_cvt_f32_f64_e32 v6, v[6:7]
	v_cvt_f32_f64_e32 v7, v[2:3]
	v_add_u32_e32 v1, s2, v1
	global_store_dwordx2 v[0:1], v[6:7], off
.LBB0_23:
	s_endpgm
	.section	.rodata,"a",@progbits
	.p2align	6, 0x0
	.amdhsa_kernel bluestein_single_back_len286_dim1_sp_op_CI_CI
		.amdhsa_group_segment_fixed_size 4576
		.amdhsa_private_segment_fixed_size 0
		.amdhsa_kernarg_size 104
		.amdhsa_user_sgpr_count 2
		.amdhsa_user_sgpr_dispatch_ptr 0
		.amdhsa_user_sgpr_queue_ptr 0
		.amdhsa_user_sgpr_kernarg_segment_ptr 1
		.amdhsa_user_sgpr_dispatch_id 0
		.amdhsa_user_sgpr_kernarg_preload_length 0
		.amdhsa_user_sgpr_kernarg_preload_offset 0
		.amdhsa_user_sgpr_private_segment_size 0
		.amdhsa_uses_dynamic_stack 0
		.amdhsa_enable_private_segment 0
		.amdhsa_system_sgpr_workgroup_id_x 1
		.amdhsa_system_sgpr_workgroup_id_y 0
		.amdhsa_system_sgpr_workgroup_id_z 0
		.amdhsa_system_sgpr_workgroup_info 0
		.amdhsa_system_vgpr_workitem_id 0
		.amdhsa_next_free_vgpr 200
		.amdhsa_next_free_sgpr 54
		.amdhsa_accum_offset 200
		.amdhsa_reserve_vcc 1
		.amdhsa_float_round_mode_32 0
		.amdhsa_float_round_mode_16_64 0
		.amdhsa_float_denorm_mode_32 3
		.amdhsa_float_denorm_mode_16_64 3
		.amdhsa_dx10_clamp 1
		.amdhsa_ieee_mode 1
		.amdhsa_fp16_overflow 0
		.amdhsa_tg_split 0
		.amdhsa_exception_fp_ieee_invalid_op 0
		.amdhsa_exception_fp_denorm_src 0
		.amdhsa_exception_fp_ieee_div_zero 0
		.amdhsa_exception_fp_ieee_overflow 0
		.amdhsa_exception_fp_ieee_underflow 0
		.amdhsa_exception_fp_ieee_inexact 0
		.amdhsa_exception_int_div_zero 0
	.end_amdhsa_kernel
	.text
.Lfunc_end0:
	.size	bluestein_single_back_len286_dim1_sp_op_CI_CI, .Lfunc_end0-bluestein_single_back_len286_dim1_sp_op_CI_CI
                                        ; -- End function
	.section	.AMDGPU.csdata,"",@progbits
; Kernel info:
; codeLenInByte = 13748
; NumSgprs: 60
; NumVgprs: 200
; NumAgprs: 0
; TotalNumVgprs: 200
; ScratchSize: 0
; MemoryBound: 0
; FloatMode: 240
; IeeeMode: 1
; LDSByteSize: 4576 bytes/workgroup (compile time only)
; SGPRBlocks: 7
; VGPRBlocks: 24
; NumSGPRsForWavesPerEU: 60
; NumVGPRsForWavesPerEU: 200
; AccumOffset: 200
; Occupancy: 2
; WaveLimiterHint : 1
; COMPUTE_PGM_RSRC2:SCRATCH_EN: 0
; COMPUTE_PGM_RSRC2:USER_SGPR: 2
; COMPUTE_PGM_RSRC2:TRAP_HANDLER: 0
; COMPUTE_PGM_RSRC2:TGID_X_EN: 1
; COMPUTE_PGM_RSRC2:TGID_Y_EN: 0
; COMPUTE_PGM_RSRC2:TGID_Z_EN: 0
; COMPUTE_PGM_RSRC2:TIDIG_COMP_CNT: 0
; COMPUTE_PGM_RSRC3_GFX90A:ACCUM_OFFSET: 49
; COMPUTE_PGM_RSRC3_GFX90A:TG_SPLIT: 0
	.text
	.p2alignl 6, 3212836864
	.fill 256, 4, 3212836864
	.type	__hip_cuid_4857adf9428e41e,@object ; @__hip_cuid_4857adf9428e41e
	.section	.bss,"aw",@nobits
	.globl	__hip_cuid_4857adf9428e41e
__hip_cuid_4857adf9428e41e:
	.byte	0                               ; 0x0
	.size	__hip_cuid_4857adf9428e41e, 1

	.ident	"AMD clang version 19.0.0git (https://github.com/RadeonOpenCompute/llvm-project roc-6.4.0 25133 c7fe45cf4b819c5991fe208aaa96edf142730f1d)"
	.section	".note.GNU-stack","",@progbits
	.addrsig
	.addrsig_sym __hip_cuid_4857adf9428e41e
	.amdgpu_metadata
---
amdhsa.kernels:
  - .agpr_count:     0
    .args:
      - .actual_access:  read_only
        .address_space:  global
        .offset:         0
        .size:           8
        .value_kind:     global_buffer
      - .actual_access:  read_only
        .address_space:  global
        .offset:         8
        .size:           8
        .value_kind:     global_buffer
      - .actual_access:  read_only
        .address_space:  global
        .offset:         16
        .size:           8
        .value_kind:     global_buffer
      - .actual_access:  read_only
        .address_space:  global
        .offset:         24
        .size:           8
        .value_kind:     global_buffer
      - .actual_access:  read_only
        .address_space:  global
        .offset:         32
        .size:           8
        .value_kind:     global_buffer
      - .offset:         40
        .size:           8
        .value_kind:     by_value
      - .address_space:  global
        .offset:         48
        .size:           8
        .value_kind:     global_buffer
      - .address_space:  global
        .offset:         56
        .size:           8
        .value_kind:     global_buffer
      - .address_space:  global
        .offset:         64
        .size:           8
        .value_kind:     global_buffer
      - .address_space:  global
        .offset:         72
        .size:           8
        .value_kind:     global_buffer
      - .offset:         80
        .size:           4
        .value_kind:     by_value
      - .address_space:  global
        .offset:         88
        .size:           8
        .value_kind:     global_buffer
      - .address_space:  global
        .offset:         96
        .size:           8
        .value_kind:     global_buffer
    .group_segment_fixed_size: 4576
    .kernarg_segment_align: 8
    .kernarg_segment_size: 104
    .language:       OpenCL C
    .language_version:
      - 2
      - 0
    .max_flat_workgroup_size: 52
    .name:           bluestein_single_back_len286_dim1_sp_op_CI_CI
    .private_segment_fixed_size: 0
    .sgpr_count:     60
    .sgpr_spill_count: 0
    .symbol:         bluestein_single_back_len286_dim1_sp_op_CI_CI.kd
    .uniform_work_group_size: 1
    .uses_dynamic_stack: false
    .vgpr_count:     200
    .vgpr_spill_count: 0
    .wavefront_size: 64
amdhsa.target:   amdgcn-amd-amdhsa--gfx950
amdhsa.version:
  - 1
  - 2
...

	.end_amdgpu_metadata
